;; amdgpu-corpus repo=ROCm/rocFFT kind=compiled arch=gfx1030 opt=O3
	.text
	.amdgcn_target "amdgcn-amd-amdhsa--gfx1030"
	.amdhsa_code_object_version 6
	.protected	bluestein_single_fwd_len1078_dim1_half_op_CI_CI ; -- Begin function bluestein_single_fwd_len1078_dim1_half_op_CI_CI
	.globl	bluestein_single_fwd_len1078_dim1_half_op_CI_CI
	.p2align	8
	.type	bluestein_single_fwd_len1078_dim1_half_op_CI_CI,@function
bluestein_single_fwd_len1078_dim1_half_op_CI_CI: ; @bluestein_single_fwd_len1078_dim1_half_op_CI_CI
; %bb.0:
	s_load_dwordx4 s[8:11], s[4:5], 0x28
	v_mul_u32_u24_e32 v1, 0x354, v0
	v_lshrrev_b32_e32 v1, 16, v1
	v_mad_u64_u32 v[32:33], null, s6, 3, v[1:2]
	v_mov_b32_e32 v33, 0
                                        ; kill: def $vgpr2 killed $sgpr0 killed $exec
	s_mov_b32 s0, exec_lo
	s_waitcnt lgkmcnt(0)
	v_cmpx_gt_u64_e64 s[8:9], v[32:33]
	s_cbranch_execz .LBB0_10
; %bb.1:
	s_clause 0x1
	s_load_dwordx4 s[0:3], s[4:5], 0x18
	s_load_dwordx4 s[12:15], s[4:5], 0x0
	v_mul_lo_u16 v1, 0x4d, v1
                                        ; implicit-def: $vgpr48
                                        ; implicit-def: $vgpr50
                                        ; implicit-def: $vgpr40
                                        ; implicit-def: $vgpr52
                                        ; implicit-def: $vgpr54
                                        ; implicit-def: $vgpr44
                                        ; implicit-def: $vgpr56
                                        ; implicit-def: $vgpr30
                                        ; implicit-def: $vgpr58
                                        ; implicit-def: $vgpr59
                                        ; implicit-def: $vgpr37
                                        ; implicit-def: $vgpr60
	v_sub_nc_u16 v27, v0, v1
	v_and_b32_e32 v79, 0xffff, v27
	v_lshlrev_b16 v21, 1, v27
	v_lshlrev_b32_e32 v8, 2, v79
	s_waitcnt lgkmcnt(0)
	s_load_dwordx4 s[16:19], s[0:1], 0x0
	s_clause 0x1
	global_load_dword v82, v8, s[12:13]
	global_load_dword v80, v8, s[12:13] offset:308
	v_add_co_u32 v7, s0, s12, v8
	v_add_co_ci_u32_e64 v9, null, s13, 0, s0
	s_waitcnt lgkmcnt(0)
	v_mad_u64_u32 v[0:1], null, s18, v32, 0
	v_mad_u64_u32 v[2:3], null, s16, v79, 0
	s_mul_i32 s0, s17, 0x86c
	s_mul_hi_u32 s1, s16, 0x86c
	s_mul_i32 s6, s16, 0x86c
	s_add_i32 s1, s1, s0
	s_mul_hi_u32 s8, s16, 0xfffff8c8
	s_mul_i32 s7, s17, 0xfffff8c8
	v_mad_u64_u32 v[4:5], null, s19, v32, v[1:2]
	s_mul_i32 s0, s16, 0xfffff8c8
	s_sub_i32 s8, s8, s16
	s_add_i32 s8, s8, s7
	v_mad_u64_u32 v[5:6], null, s17, v79, v[3:4]
	v_mov_b32_e32 v1, v4
	v_add_co_u32 v6, vcc_lo, 0x800, v7
	v_add_co_ci_u32_e32 v7, vcc_lo, 0, v9, vcc_lo
	v_lshlrev_b64 v[0:1], 2, v[0:1]
	v_mov_b32_e32 v3, v5
	global_load_dword v81, v[6:7], off offset:108
	v_lshlrev_b64 v[2:3], 2, v[2:3]
	v_add_co_u32 v0, vcc_lo, s10, v0
	v_add_co_ci_u32_e32 v1, vcc_lo, s11, v1, vcc_lo
	v_add_co_u32 v0, vcc_lo, v0, v2
	v_add_co_ci_u32_e32 v1, vcc_lo, v1, v3, vcc_lo
	;; [unrolled: 2-line block ×3, first 2 shown]
	s_clause 0x1
	global_load_dword v4, v[0:1], off
	global_load_dword v5, v[2:3], off
	v_add_co_u32 v0, vcc_lo, v2, s0
	v_add_co_ci_u32_e32 v1, vcc_lo, s8, v3, vcc_lo
	v_add_co_u32 v2, vcc_lo, v0, s6
	v_add_co_ci_u32_e32 v3, vcc_lo, s1, v1, vcc_lo
	global_load_dword v9, v[0:1], off
	v_add_co_u32 v0, vcc_lo, v2, s0
	v_add_co_ci_u32_e32 v1, vcc_lo, s8, v3, vcc_lo
	global_load_dword v10, v[2:3], off
	s_clause 0x1
	global_load_dword v77, v[6:7], off offset:416
	global_load_dword v76, v8, s[12:13] offset:616
	global_load_dword v11, v[0:1], off
	v_add_co_u32 v0, vcc_lo, v0, s6
	v_add_co_ci_u32_e32 v1, vcc_lo, s1, v1, vcc_lo
	global_load_dword v75, v[6:7], off offset:724
	v_add_co_u32 v2, vcc_lo, v0, s0
	v_add_co_ci_u32_e32 v3, vcc_lo, s8, v1, vcc_lo
	global_load_dword v12, v[0:1], off
	v_add_co_u32 v0, vcc_lo, v2, s6
	v_add_co_ci_u32_e32 v1, vcc_lo, s1, v3, vcc_lo
	global_load_dword v13, v[2:3], off
	s_clause 0x2
	global_load_dword v74, v8, s[12:13] offset:924
	global_load_dword v72, v8, s[12:13] offset:1232
	;; [unrolled: 1-line block ×3, first 2 shown]
	global_load_dword v14, v[0:1], off
	v_add_co_u32 v0, vcc_lo, v0, s0
	v_add_co_ci_u32_e32 v1, vcc_lo, s8, v1, vcc_lo
	s_clause 0x1
	global_load_dword v73, v[6:7], off offset:1032
	global_load_dword v71, v[6:7], off offset:1340
	v_add_co_u32 v2, vcc_lo, v0, s6
	v_add_co_ci_u32_e32 v3, vcc_lo, s1, v1, vcc_lo
	global_load_dword v15, v[0:1], off
	v_add_co_u32 v0, vcc_lo, v2, s0
	v_add_co_ci_u32_e32 v1, vcc_lo, s8, v3, vcc_lo
	global_load_dword v16, v[2:3], off
	;; [unrolled: 3-line block ×4, first 2 shown]
	v_add_co_u32 v2, vcc_lo, v0, s6
	v_add_co_ci_u32_e32 v3, vcc_lo, s1, v1, vcc_lo
	global_load_dword v69, v[6:7], off offset:1648
	global_load_dword v19, v[0:1], off
	global_load_dword v20, v[2:3], off
	s_clause 0x1
	global_load_dword v68, v8, s[12:13] offset:1848
	global_load_dword v67, v[6:7], off offset:1956
	v_mul_hi_u32 v0, 0xaaaaaaab, v32
	s_load_dwordx4 s[8:11], s[2:3], 0x0
	v_add_co_u32 v31, s0, 0x4d, v79
	s_load_dwordx2 s[2:3], s[4:5], 0x38
	v_cmp_gt_u16_e32 vcc_lo, 21, v27
                                        ; implicit-def: $vgpr27
	v_lshrrev_b32_e32 v0, 1, v0
	v_lshl_add_u32 v0, v0, 1, v0
	v_sub_nc_u32_e32 v0, v32, v0
	v_mul_u32_u24_e32 v0, 0x436, v0
	v_lshlrev_b32_e32 v83, 2, v0
	v_add_nc_u32_e32 v78, v8, v83
	v_lshl_add_u32 v42, v79, 3, v83
	v_lshl_add_u32 v57, v31, 3, v83
	v_add_nc_u32_e32 v1, 0x800, v78
	v_add_nc_u32_e32 v3, 0x400, v78
	;; [unrolled: 1-line block ×5, first 2 shown]
	s_waitcnt vmcnt(24)
	v_lshrrev_b32_e32 v6, 16, v4
	v_mul_f16_sdwa v7, v82, v4 dst_sel:DWORD dst_unused:UNUSED_PAD src0_sel:WORD_1 src1_sel:DWORD
	s_waitcnt vmcnt(23)
	v_lshrrev_b32_e32 v22, 16, v5
	v_mul_f16_sdwa v23, v81, v5 dst_sel:DWORD dst_unused:UNUSED_PAD src0_sel:WORD_1 src1_sel:DWORD
	v_mul_f16_sdwa v8, v82, v6 dst_sel:DWORD dst_unused:UNUSED_PAD src0_sel:WORD_1 src1_sel:DWORD
	v_fma_f16 v6, v82, v6, -v7
	v_fmac_f16_e32 v8, v82, v4
	v_mul_f16_sdwa v4, v81, v22 dst_sel:DWORD dst_unused:UNUSED_PAD src0_sel:WORD_1 src1_sel:DWORD
	v_fma_f16 v22, v81, v22, -v23
	s_waitcnt vmcnt(22)
	v_lshrrev_b32_e32 v7, 16, v9
	v_mul_f16_sdwa v23, v80, v9 dst_sel:DWORD dst_unused:UNUSED_PAD src0_sel:WORD_1 src1_sel:DWORD
	v_pack_b32_f16 v6, v8, v6
	v_fmac_f16_e32 v4, v81, v5
	s_waitcnt vmcnt(21)
	v_lshrrev_b32_e32 v8, 16, v10
	v_mul_f16_sdwa v5, v80, v7 dst_sel:DWORD dst_unused:UNUSED_PAD src0_sel:WORD_1 src1_sel:DWORD
	s_waitcnt vmcnt(20)
	v_mul_f16_sdwa v24, v77, v10 dst_sel:DWORD dst_unused:UNUSED_PAD src0_sel:WORD_1 src1_sel:DWORD
	v_fma_f16 v7, v80, v7, -v23
	v_pack_b32_f16 v4, v4, v22
	s_waitcnt vmcnt(18)
	v_lshrrev_b32_e32 v22, 16, v11
	v_fmac_f16_e32 v5, v80, v9
	v_mul_f16_sdwa v9, v77, v8 dst_sel:DWORD dst_unused:UNUSED_PAD src0_sel:WORD_1 src1_sel:DWORD
	v_fma_f16 v8, v77, v8, -v24
	v_mul_f16_sdwa v23, v76, v11 dst_sel:DWORD dst_unused:UNUSED_PAD src0_sel:WORD_1 src1_sel:DWORD
	ds_write_b32 v78, v4 offset:2156
	v_pack_b32_f16 v4, v5, v7
	v_fmac_f16_e32 v9, v77, v10
	v_mul_f16_sdwa v5, v76, v22 dst_sel:DWORD dst_unused:UNUSED_PAD src0_sel:WORD_1 src1_sel:DWORD
	s_waitcnt vmcnt(16)
	v_lshrrev_b32_e32 v10, 16, v12
	v_fma_f16 v7, v76, v22, -v23
	v_mul_f16_sdwa v22, v75, v12 dst_sel:DWORD dst_unused:UNUSED_PAD src0_sel:WORD_1 src1_sel:DWORD
	ds_write2_b32 v78, v6, v4 offset1:77
	v_pack_b32_f16 v4, v9, v8
	v_fmac_f16_e32 v5, v76, v11
	v_mul_f16_sdwa v6, v75, v10 dst_sel:DWORD dst_unused:UNUSED_PAD src0_sel:WORD_1 src1_sel:DWORD
	s_waitcnt vmcnt(15)
	v_lshrrev_b32_e32 v8, 16, v13
	v_fma_f16 v9, v75, v10, -v22
	s_waitcnt vmcnt(14)
	v_mul_f16_sdwa v10, v74, v13 dst_sel:DWORD dst_unused:UNUSED_PAD src0_sel:WORD_1 src1_sel:DWORD
	v_pack_b32_f16 v5, v5, v7
	v_fmac_f16_e32 v6, v75, v12
	v_mul_f16_sdwa v7, v74, v8 dst_sel:DWORD dst_unused:UNUSED_PAD src0_sel:WORD_1 src1_sel:DWORD
	s_waitcnt vmcnt(11)
	v_lshrrev_b32_e32 v11, 16, v14
	s_waitcnt vmcnt(10)
	v_mul_f16_sdwa v12, v73, v14 dst_sel:DWORD dst_unused:UNUSED_PAD src0_sel:WORD_1 src1_sel:DWORD
	v_fma_f16 v8, v74, v8, -v10
	v_pack_b32_f16 v6, v6, v9
	v_fmac_f16_e32 v7, v74, v13
	v_mul_f16_sdwa v9, v73, v11 dst_sel:DWORD dst_unused:UNUSED_PAD src0_sel:WORD_1 src1_sel:DWORD
	v_fma_f16 v10, v73, v11, -v12
	s_waitcnt vmcnt(8)
	v_lshrrev_b32_e32 v11, 16, v15
	v_mul_f16_sdwa v12, v72, v15 dst_sel:DWORD dst_unused:UNUSED_PAD src0_sel:WORD_1 src1_sel:DWORD
	ds_write2_b32 v1, v4, v6 offset0:104 offset1:181
	v_pack_b32_f16 v4, v7, v8
	v_fmac_f16_e32 v9, v73, v14
	v_mul_f16_sdwa v6, v72, v11 dst_sel:DWORD dst_unused:UNUSED_PAD src0_sel:WORD_1 src1_sel:DWORD
	v_fma_f16 v7, v72, v11, -v12
	s_waitcnt vmcnt(7)
	v_lshrrev_b32_e32 v8, 16, v16
	v_mul_f16_sdwa v11, v71, v16 dst_sel:DWORD dst_unused:UNUSED_PAD src0_sel:WORD_1 src1_sel:DWORD
	v_pack_b32_f16 v9, v9, v10
	v_fmac_f16_e32 v6, v72, v15
	s_waitcnt vmcnt(6)
	v_lshrrev_b32_e32 v10, 16, v17
	v_mul_f16_sdwa v12, v71, v8 dst_sel:DWORD dst_unused:UNUSED_PAD src0_sel:WORD_1 src1_sel:DWORD
	v_fma_f16 v8, v71, v8, -v11
	v_mul_f16_sdwa v11, v70, v17 dst_sel:DWORD dst_unused:UNUSED_PAD src0_sel:WORD_1 src1_sel:DWORD
	v_pack_b32_f16 v6, v6, v7
	v_mul_f16_sdwa v7, v70, v10 dst_sel:DWORD dst_unused:UNUSED_PAD src0_sel:WORD_1 src1_sel:DWORD
	s_waitcnt vmcnt(5)
	v_lshrrev_b32_e32 v13, 16, v18
	s_waitcnt vmcnt(3)
	v_lshrrev_b32_e32 v14, 16, v19
	v_fma_f16 v10, v70, v10, -v11
	v_mul_f16_sdwa v11, v69, v18 dst_sel:DWORD dst_unused:UNUSED_PAD src0_sel:WORD_1 src1_sel:DWORD
	v_fmac_f16_e32 v12, v71, v16
	s_waitcnt vmcnt(2)
	v_lshrrev_b32_e32 v16, 16, v20
	v_fmac_f16_e32 v7, v70, v17
	v_mul_f16_sdwa v15, v69, v13 dst_sel:DWORD dst_unused:UNUSED_PAD src0_sel:WORD_1 src1_sel:DWORD
	v_fma_f16 v11, v69, v13, -v11
	s_waitcnt vmcnt(1)
	v_mul_f16_sdwa v13, v68, v19 dst_sel:DWORD dst_unused:UNUSED_PAD src0_sel:WORD_1 src1_sel:DWORD
	v_mul_f16_sdwa v17, v68, v14 dst_sel:DWORD dst_unused:UNUSED_PAD src0_sel:WORD_1 src1_sel:DWORD
	s_waitcnt vmcnt(0)
	v_mul_f16_sdwa v22, v67, v20 dst_sel:DWORD dst_unused:UNUSED_PAD src0_sel:WORD_1 src1_sel:DWORD
	v_mul_f16_sdwa v23, v67, v16 dst_sel:DWORD dst_unused:UNUSED_PAD src0_sel:WORD_1 src1_sel:DWORD
	v_fmac_f16_e32 v15, v69, v18
	v_fma_f16 v13, v68, v14, -v13
	v_fmac_f16_e32 v17, v68, v19
	v_fma_f16 v14, v67, v16, -v22
	v_fmac_f16_e32 v23, v67, v20
	v_pack_b32_f16 v8, v12, v8
	v_pack_b32_f16 v7, v7, v10
	;; [unrolled: 1-line block ×5, first 2 shown]
	ds_write2_b32 v78, v5, v4 offset0:154 offset1:231
	ds_write2_b32 v0, v9, v8 offset0:2 offset1:79
	;; [unrolled: 1-line block ×3, first 2 shown]
	ds_write_b32 v78, v11 offset:1848
	ds_write2_b32 v0, v10, v12 offset0:156 offset1:233
	s_waitcnt lgkmcnt(0)
	s_barrier
	buffer_gl0_inv
	ds_read2_b32 v[4:5], v3 offset0:52 offset1:129
	ds_read2_b32 v[6:7], v0 offset0:156 offset1:233
	;; [unrolled: 1-line block ×3, first 2 shown]
	ds_read2_b32 v[10:11], v78 offset1:77
	ds_read2_b32 v[12:13], v1 offset0:104 offset1:181
	ds_read2_b32 v[14:15], v78 offset0:154 offset1:231
	;; [unrolled: 1-line block ×3, first 2 shown]
	v_and_b32_e32 v16, 0xffff, v21
	v_add_co_ci_u32_e64 v19, null, 0, 0, s0
	v_add_nc_u32_e32 v24, 0x800, v42
	s_waitcnt lgkmcnt(0)
	v_lshl_add_u32 v51, v16, 2, v83
	s_barrier
	buffer_gl0_inv
	v_pk_add_f16 v16, v5, v6 neg_lo:[0,1] neg_hi:[0,1]
	v_pk_add_f16 v39, v8, v7 neg_lo:[0,1] neg_hi:[0,1]
	v_pk_add_f16 v19, v10, v9 neg_lo:[0,1] neg_hi:[0,1]
	v_pk_add_f16 v7, v11, v12 neg_lo:[0,1] neg_hi:[0,1]
	v_pk_add_f16 v12, v14, v13 neg_lo:[0,1] neg_hi:[0,1]
	v_pk_add_f16 v21, v15, v17 neg_lo:[0,1] neg_hi:[0,1]
	v_pk_add_f16 v23, v4, v18 neg_lo:[0,1] neg_hi:[0,1]
	v_pk_fma_f16 v18, v10, 2.0, v19 op_sel_hi:[1,0,1] neg_lo:[0,0,1] neg_hi:[0,0,1]
	v_pk_fma_f16 v6, v11, 2.0, v7 op_sel_hi:[1,0,1] neg_lo:[0,0,1] neg_hi:[0,0,1]
	;; [unrolled: 1-line block ×7, first 2 shown]
	ds_write_b64 v51, v[18:19]
	ds_write_b64 v57, v[6:7]
	ds_write2_b64 v42, v[11:12], v[20:21] offset0:154 offset1:231
	ds_write2_b64 v24, v[22:23], v[15:16] offset0:52 offset1:129
	ds_write_b64 v42, v[38:39] offset:3696
	s_waitcnt lgkmcnt(0)
	s_barrier
	buffer_gl0_inv
	ds_read2_b32 v[17:18], v78 offset1:98
	ds_read2_b32 v[19:20], v25 offset0:68 offset1:166
	ds_read2_b32 v[21:22], v3 offset0:136 offset1:234
	;; [unrolled: 1-line block ×4, first 2 shown]
	ds_read_b32 v43, v78 offset:3920
	v_lshrrev_b32_e32 v47, 16, v38
	s_and_saveexec_b32 s0, vcc_lo
	s_cbranch_execz .LBB0_3
; %bb.2:
	ds_read2_b32 v[4:5], v78 offset0:77 offset1:175
	ds_read2_b32 v[36:37], v3 offset0:17 offset1:115
	;; [unrolled: 1-line block ×5, first 2 shown]
	ds_read_b32 v44, v78 offset:4228
	s_waitcnt lgkmcnt(5)
	v_lshrrev_b32_e32 v47, 16, v5
	s_waitcnt lgkmcnt(4)
	v_lshrrev_b32_e32 v60, 16, v37
	;; [unrolled: 2-line block ×3, first 2 shown]
	v_lshrrev_b32_e32 v58, 16, v30
	s_waitcnt lgkmcnt(2)
	v_lshrrev_b32_e32 v48, 16, v27
	v_lshrrev_b32_e32 v50, 16, v28
	s_waitcnt lgkmcnt(1)
	v_lshrrev_b32_e32 v52, 16, v40
	v_lshrrev_b32_e32 v54, 16, v41
	s_waitcnt lgkmcnt(0)
	v_lshrrev_b32_e32 v56, 16, v44
	v_mov_b32_e32 v38, v5
	v_mov_b32_e32 v39, v36
	;; [unrolled: 1-line block ×3, first 2 shown]
.LBB0_3:
	s_or_b32 exec_lo, exec_lo, s0
	v_and_b32_e32 v45, 1, v79
	v_and_b32_e32 v84, 1, v31
	v_lshrrev_b32_e32 v46, 1, v79
	s_waitcnt lgkmcnt(5)
	v_lshrrev_b32_e32 v61, 16, v18
	s_waitcnt lgkmcnt(0)
	v_lshrrev_b32_e32 v62, 16, v43
	v_mul_u32_u24_e32 v0, 10, v45
	v_mul_u32_u24_e32 v1, 10, v84
	;; [unrolled: 1-line block ×3, first 2 shown]
	v_lshrrev_b32_e32 v90, 16, v19
	v_lshrrev_b32_e32 v93, 16, v21
	v_lshlrev_b32_e32 v12, 2, v0
	v_lshlrev_b32_e32 v13, 2, v1
	v_lshrrev_b32_e32 v98, 16, v26
	v_or_b32_e32 v45, v46, v45
	v_lshrrev_b32_e32 v86, 16, v39
	s_clause 0x5
	global_load_dwordx4 v[8:11], v12, s[14:15]
	global_load_dwordx2 v[35:36], v12, s[14:15] offset:32
	global_load_dwordx4 v[0:3], v13, s[14:15]
	global_load_dwordx4 v[4:7], v13, s[14:15] offset:16
	global_load_dwordx2 v[33:34], v13, s[14:15] offset:32
	global_load_dwordx4 v[12:15], v12, s[14:15] offset:16
	v_lshrrev_b32_e32 v91, 16, v20
	v_lshrrev_b32_e32 v94, 16, v22
	;; [unrolled: 1-line block ×4, first 2 shown]
	v_lshl_add_u32 v85, v45, 2, v83
	v_lshrrev_b32_e32 v96, 16, v24
	s_waitcnt vmcnt(0)
	s_barrier
	buffer_gl0_inv
	v_mul_f16_sdwa v102, v18, v8 dst_sel:DWORD dst_unused:UNUSED_PAD src0_sel:DWORD src1_sel:WORD_1
	v_mul_f16_sdwa v92, v43, v36 dst_sel:DWORD dst_unused:UNUSED_PAD src0_sel:DWORD src1_sel:WORD_1
	;; [unrolled: 1-line block ×13, first 2 shown]
	v_fmac_f16_e32 v102, v61, v8
	v_fmac_f16_e32 v92, v62, v36
	v_fma_f16 v61, v18, v8, -v88
	v_mul_f16_sdwa v89, v62, v36 dst_sel:DWORD dst_unused:UNUSED_PAD src0_sel:DWORD src1_sel:WORD_1
	v_mul_f16_sdwa v87, v38, v0 dst_sel:DWORD dst_unused:UNUSED_PAD src0_sel:DWORD src1_sel:WORD_1
	;; [unrolled: 1-line block ×16, first 2 shown]
	v_fma_f16 v101, v38, v0, -v99
	v_fma_f16 v99, v37, v2, -v103
	;; [unrolled: 1-line block ×8, first 2 shown]
	v_fmac_f16_e32 v118, v90, v9
	v_fmac_f16_e32 v107, v98, v35
	v_sub_f16_e32 v19, v102, v92
	v_add_f16_e32 v120, v102, v92
	v_add_f16_e32 v113, v17, v61
	v_add_f16_sdwa v102, v17, v102 dst_sel:DWORD dst_unused:UNUSED_PAD src0_sel:WORD_1 src1_sel:DWORD
	v_mul_f16_sdwa v66, v39, v1 dst_sel:DWORD dst_unused:UNUSED_PAD src0_sel:DWORD src1_sel:WORD_1
	v_mul_f16_sdwa v46, v41, v33 dst_sel:DWORD dst_unused:UNUSED_PAD src0_sel:DWORD src1_sel:WORD_1
	v_fma_f16 v109, v43, v36, -v89
	v_fmac_f16_e32 v87, v47, v0
	v_fmac_f16_e32 v45, v56, v34
	v_mul_f16_sdwa v64, v29, v3 dst_sel:DWORD dst_unused:UNUSED_PAD src0_sel:DWORD src1_sel:WORD_1
	v_mul_f16_sdwa v53, v28, v6 dst_sel:DWORD dst_unused:UNUSED_PAD src0_sel:DWORD src1_sel:WORD_1
	;; [unrolled: 1-line block ×3, first 2 shown]
	v_fma_f16 v100, v39, v1, -v100
	v_fma_f16 v89, v29, v3, -v104
	v_fma_f16 v29, v28, v6, -v108
	v_fma_f16 v28, v44, v34, -v115
	v_fma_f16 v39, v20, v10, -v117
	v_fma_f16 v43, v22, v12, -v121
	v_fma_f16 v44, v23, v13, -v124
	v_fma_f16 v116, v25, v15, -v126
	v_fmac_f16_e32 v119, v91, v10
	v_sub_f16_e32 v121, v118, v107
	v_add_f16_e32 v91, v38, v37
	v_sub_f16_e32 v124, v38, v37
	v_add_f16_e32 v90, v118, v107
	v_add_f16_e32 v38, v113, v38
	;; [unrolled: 1-line block ×3, first 2 shown]
	v_mul_f16_sdwa v114, v54, v33 dst_sel:DWORD dst_unused:UNUSED_PAD src0_sel:DWORD src1_sel:WORD_1
	v_mul_f16_sdwa v110, v25, v15 dst_sel:DWORD dst_unused:UNUSED_PAD src0_sel:DWORD src1_sel:WORD_1
	v_fmac_f16_e32 v66, v86, v1
	v_fmac_f16_e32 v46, v54, v33
	v_sub_f16_e32 v20, v61, v109
	v_sub_f16_e32 v56, v87, v45
	v_mul_f16_sdwa v123, v22, v12 dst_sel:DWORD dst_unused:UNUSED_PAD src0_sel:DWORD src1_sel:WORD_1
	v_fmac_f16_e32 v122, v93, v11
	v_add_f16_e32 v86, v39, v116
	v_sub_f16_e32 v126, v39, v116
	v_add_f16_e32 v38, v38, v39
	v_add_f16_e32 v39, v118, v119
	v_mul_f16_sdwa v125, v96, v14 dst_sel:DWORD dst_unused:UNUSED_PAD src0_sel:DWORD src1_sel:WORD_1
	v_mul_f16_sdwa v111, v24, v14 dst_sel:DWORD dst_unused:UNUSED_PAD src0_sel:DWORD src1_sel:WORD_1
	v_fma_f16 v18, v41, v33, -v114
	v_fmac_f16_e32 v65, v60, v2
	v_fmac_f16_e32 v49, v52, v7
	;; [unrolled: 1-line block ×3, first 2 shown]
	v_add_f16_e32 v117, v61, v109
	v_add_f16_e32 v41, v101, v28
	v_sub_f16_e32 v54, v66, v46
	v_mul_f16_e32 v132, 0xbb47, v19
	v_mul_f16_e32 v133, 0xbbeb, v19
	;; [unrolled: 1-line block ×7, first 2 shown]
	v_mul_f16_sdwa v112, v23, v13 dst_sel:DWORD dst_unused:UNUSED_PAD src0_sel:DWORD src1_sel:WORD_1
	v_fmac_f16_e32 v123, v94, v12
	v_mul_f16_e32 v131, 0xb853, v19
	v_mul_f16_e32 v134, 0xba0c, v19
	;; [unrolled: 1-line block ×7, first 2 shown]
	v_add_f16_e32 v38, v38, v40
	v_add_f16_e32 v39, v39, v122
	v_fmac_f16_e32 v64, v59, v3
	v_fmac_f16_e32 v53, v50, v6
	v_fma_f16 v115, v24, v14, -v125
	v_fmac_f16_e32 v111, v96, v14
	v_add_f16_e32 v26, v100, v18
	v_sub_f16_e32 v52, v65, v49
	v_sub_f16_e32 v125, v119, v110
	v_add_f16_e32 v62, v119, v110
	v_mul_f16_e32 v142, 0x3482, v54
	v_mul_f16_e32 v147, 0x3beb, v54
	;; [unrolled: 1-line block ×7, first 2 shown]
	v_fma_f16 v174, v117, 0x36a6, -v132
	v_fma_f16 v175, v117, 0xb08e, -v133
	v_fmamk_f16 v178, v120, 0x36a6, v137
	v_fmamk_f16 v179, v120, 0xb08e, v138
	v_fma_f16 v183, v41, 0xb08e, -v141
	v_fmac_f16_e32 v141, 0xb08e, v41
	v_fma_f16 v190, v41, 0xb93d, -v146
	v_fma_f16 v119, v41, 0xbbad, -v148
	v_fmac_f16_e32 v146, 0xb93d, v41
	v_fmac_f16_e32 v148, 0xbbad, v41
	v_fmac_f16_e32 v112, v95, v13
	v_mul_f16_e32 v25, 0xba0c, v54
	v_mul_f16_e32 v157, 0xbb47, v121
	;; [unrolled: 1-line block ×3, first 2 shown]
	v_fma_f16 v173, v117, 0x3abb, -v131
	v_fmac_f16_e32 v131, 0x3abb, v117
	v_fmac_f16_e32 v132, 0x36a6, v117
	v_fmac_f16_e32 v133, 0xb08e, v117
	v_fma_f16 v176, v117, 0xb93d, -v134
	v_fmac_f16_e32 v134, 0xb93d, v117
	v_fma_f16 v177, v117, 0xbbad, -v135
	v_fmac_f16_e32 v135, 0xbbad, v117
	v_fmamk_f16 v117, v120, 0x3abb, v136
	v_fma_f16 v136, v120, 0x3abb, -v136
	v_fma_f16 v137, v120, 0x36a6, -v137
	;; [unrolled: 1-line block ×3, first 2 shown]
	v_fmamk_f16 v180, v120, 0xb93d, v139
	v_fma_f16 v139, v120, 0xb93d, -v139
	v_fmamk_f16 v181, v120, 0xbbad, v140
	v_fma_f16 v120, v120, 0xbbad, -v140
	v_fmamk_f16 v140, v41, 0x36a6, v47
	v_add_f16_e32 v38, v38, v43
	v_add_f16_e32 v39, v39, v123
	;; [unrolled: 1-line block ×3, first 2 shown]
	v_sub_f16_e32 v50, v64, v53
	v_sub_f16_e32 v127, v122, v111
	;; [unrolled: 1-line block ×3, first 2 shown]
	v_mul_f16_e32 v143, 0x3b47, v52
	v_mul_f16_e32 v150, 0xb853, v52
	;; [unrolled: 1-line block ×7, first 2 shown]
	v_fma_f16 v184, v26, 0xbbad, -v142
	v_fmac_f16_e32 v142, 0xbbad, v26
	v_fma_f16 v118, v26, 0xb08e, -v147
	v_fma_f16 v191, v26, 0x3abb, -v149
	v_fmac_f16_e32 v147, 0xb08e, v26
	v_fmac_f16_e32 v149, 0x3abb, v26
	v_fma_f16 v192, v91, 0xb93d, -v105
	v_fmamk_f16 v193, v90, 0xb93d, v108
	v_fma_f16 v194, v91, 0xbbad, -v103
	v_fmamk_f16 v195, v90, 0xbbad, v106
	v_add_f16_e32 v174, v17, v174
	v_add_f16_sdwa v178, v17, v178 dst_sel:DWORD dst_unused:UNUSED_PAD src0_sel:WORD_1 src1_sel:DWORD
	v_add_f16_e32 v175, v17, v175
	v_add_f16_sdwa v179, v17, v179 dst_sel:DWORD dst_unused:UNUSED_PAD src0_sel:WORD_1 src1_sel:DWORD
	v_add_f16_e32 v141, v16, v141
	v_add_f16_e32 v146, v16, v146
	;; [unrolled: 1-line block ×3, first 2 shown]
	v_mul_f16_e32 v161, 0xbbeb, v125
	v_mul_f16_e32 v162, 0xbbeb, v126
	v_fmamk_f16 v182, v26, 0xb93d, v25
	v_fma_f16 v196, v91, 0x36a6, -v157
	v_fmamk_f16 v197, v90, 0x36a6, v158
	v_add_f16_e32 v173, v17, v173
	v_add_f16_sdwa v117, v17, v117 dst_sel:DWORD dst_unused:UNUSED_PAD src0_sel:WORD_1 src1_sel:DWORD
	v_add_f16_e32 v140, v16, v140
	v_add_f16_e32 v38, v38, v44
	;; [unrolled: 1-line block ×6, first 2 shown]
	v_sub_f16_e32 v129, v123, v112
	v_sub_f16_e32 v130, v43, v44
	v_mul_f16_e32 v144, 0xb853, v50
	v_mul_f16_e32 v152, 0xb482, v50
	;; [unrolled: 1-line block ×10, first 2 shown]
	v_fma_f16 v186, v24, 0x36a6, -v143
	v_fmac_f16_e32 v143, 0x36a6, v24
	v_fma_f16 v202, v24, 0x3abb, -v150
	v_fma_f16 v203, v24, 0xb93d, -v151
	v_fmac_f16_e32 v150, 0x3abb, v24
	v_fmac_f16_e32 v151, 0xb93d, v24
	v_add_f16_e32 v131, v17, v131
	v_add_f16_sdwa v136, v17, v136 dst_sel:DWORD dst_unused:UNUSED_PAD src0_sel:WORD_1 src1_sel:DWORD
	v_add_f16_e32 v132, v17, v132
	v_add_f16_sdwa v137, v17, v137 dst_sel:DWORD dst_unused:UNUSED_PAD src0_sel:WORD_1 src1_sel:DWORD
	;; [unrolled: 2-line block ×7, first 2 shown]
	v_fma_f16 v120, v86, 0xbbad, -v97
	v_fmamk_f16 v204, v62, 0xbbad, v104
	v_fma_f16 v40, v86, 0x36a6, -v96
	v_fmamk_f16 v122, v62, 0x36a6, v98
	v_add_f16_e32 v141, v142, v141
	v_add_f16_e32 v146, v147, v146
	;; [unrolled: 1-line block ×7, first 2 shown]
	v_mul_f16_e32 v124, 0x3853, v124
	v_mul_f16_e32 v166, 0xba0c, v127
	;; [unrolled: 1-line block ×3, first 2 shown]
	v_add_f16_e32 v140, v182, v140
	v_fma_f16 v182, v86, 0xb08e, -v161
	v_fmamk_f16 v142, v62, 0xb08e, v162
	v_add_f16_e32 v173, v196, v173
	v_add_f16_e32 v117, v197, v117
	;; [unrolled: 1-line block ×4, first 2 shown]
	v_fmac_f16_e32 v63, v58, v4
	v_add_f16_e32 v59, v43, v44
	v_add_f16_e32 v58, v123, v112
	v_mul_f16_e32 v114, 0x3853, v129
	v_mul_f16_e32 v113, 0x3853, v130
	;; [unrolled: 1-line block ×4, first 2 shown]
	v_fma_f16 v188, v23, 0x3abb, -v144
	v_fmac_f16_e32 v144, 0x3abb, v23
	v_fma_f16 v198, v91, 0xb08e, -v159
	v_fmamk_f16 v199, v90, 0xb08e, v160
	v_fma_f16 v200, v91, 0x3abb, -v121
	v_fma_f16 v149, v23, 0xbbad, -v152
	;; [unrolled: 1-line block ×3, first 2 shown]
	v_fmac_f16_e32 v152, 0xbbad, v23
	v_fmac_f16_e32 v153, 0x36a6, v23
	v_fma_f16 v193, v61, 0xb08e, -v95
	v_fmamk_f16 v194, v60, 0xb08e, v94
	v_fma_f16 v195, v61, 0x3abb, -v93
	v_fmamk_f16 v43, v60, 0x3abb, v156
	v_add_f16_e32 v141, v143, v141
	v_add_f16_e32 v146, v150, v146
	v_add_f16_e32 v148, v151, v148
	v_add_f16_e32 v120, v120, v174
	v_add_f16_e32 v174, v204, v178
	v_add_f16_e32 v40, v40, v175
	v_add_f16_e32 v122, v122, v179
	v_mul_f16_e32 v169, 0xb482, v129
	v_mul_f16_e32 v170, 0xb482, v130
	v_fmamk_f16 v201, v90, 0x3abb, v124
	v_fma_f16 v123, v61, 0xb93d, -v166
	v_fmamk_f16 v196, v60, 0xb93d, v167
	v_add_f16_e32 v44, v182, v173
	v_add_f16_e32 v112, v142, v117
	;; [unrolled: 1-line block ×4, first 2 shown]
	v_fmac_f16_e32 v55, v48, v5
	v_mul_f16_e32 v164, 0xb853, v126
	v_add_f16_e32 v190, v16, v190
	v_add_f16_e32 v119, v16, v119
	v_fma_f16 v197, v59, 0x3abb, -v114
	v_add_f16_e32 v176, v198, v176
	v_fmamk_f16 v198, v58, 0x3abb, v113
	v_add_f16_e32 v180, v199, v180
	v_fma_f16 v199, v59, 0xb93d, -v165
	v_add_f16_e32 v177, v200, v177
	v_fmamk_f16 v200, v58, 0xb93d, v168
	v_add_f16_e32 v141, v144, v141
	v_add_f16_e32 v144, v152, v146
	;; [unrolled: 1-line block ×8, first 2 shown]
	v_fma_f16 v201, v59, 0xbbad, -v169
	v_fmamk_f16 v143, v58, 0xbbad, v170
	v_add_f16_e32 v111, v123, v44
	v_add_f16_e32 v112, v196, v112
	;; [unrolled: 1-line block ×4, first 2 shown]
	v_sub_f16_e32 v48, v63, v55
	v_mul_f16_e32 v21, 0x3482, v52
	v_mul_f16_e32 v163, 0xb853, v125
	;; [unrolled: 1-line block ×3, first 2 shown]
	v_add_f16_e32 v118, v118, v190
	v_add_f16_e32 v119, v191, v119
	v_fmamk_f16 v191, v62, 0x3abb, v164
	v_add_f16_e32 v110, v197, v120
	v_add_f16_e32 v115, v198, v148
	;; [unrolled: 1-line block ×9, first 2 shown]
	v_mul_f16_e32 v154, 0x3b47, v48
	v_mul_f16_e32 v155, 0xbbeb, v48
	;; [unrolled: 1-line block ×5, first 2 shown]
	v_fmamk_f16 v185, v24, 0xbbad, v21
	v_fma_f16 v190, v86, 0x3abb, -v163
	v_add_f16_e32 v118, v202, v118
	v_add_f16_e32 v119, v203, v119
	v_fmamk_f16 v151, v60, 0xbbad, v172
	v_add_f16_e32 v142, v191, v180
	v_pack_b32_f16 v92, v110, v115
	v_pack_b32_f16 v110, v40, v39
	v_mul_f16_e32 v115, 0x3b47, v130
	v_pack_b32_f16 v107, v107, v111
	v_pack_b32_f16 v109, v109, v38
	v_mul_f16_e32 v127, 0x3b47, v127
	v_fma_f16 v147, v86, 0xb93d, -v125
	v_add_f16_e32 v140, v185, v140
	v_fma_f16 v185, v22, 0x36a6, -v154
	v_fma_f16 v202, v22, 0xb08e, -v155
	v_fmamk_f16 v203, v62, 0xb93d, v126
	v_fma_f16 v150, v61, 0xbbad, -v171
	v_add_f16_e32 v117, v190, v176
	v_add_f16_e32 v118, v149, v118
	v_add_f16_e32 v119, v192, v119
	ds_write2_b32 v85, v92, v110 offset0:4 offset1:6
	ds_write2_b32 v85, v109, v107 offset1:2
	v_mul_f16_e32 v110, 0x3b47, v128
	v_add_f16_e32 v111, v151, v142
	v_mul_f16_e32 v112, 0x3b47, v129
	v_fmamk_f16 v120, v58, 0x36a6, v115
	v_add_f16_e32 v147, v147, v177
	v_add_f16_e32 v37, v185, v118
	;; [unrolled: 1-line block ×4, first 2 shown]
	v_fma_f16 v107, v61, 0x36a6, -v127
	v_add_f16_e32 v109, v150, v117
	v_fmamk_f16 v116, v60, 0x36a6, v110
	v_mul_f16_e32 v117, 0xbbeb, v129
	v_fma_f16 v118, v59, 0x36a6, -v112
	v_mul_f16_e32 v119, 0xbbeb, v130
	v_add_f16_e32 v111, v120, v111
	v_fmac_f16_e32 v121, 0x3abb, v91
	v_fma_f16 v120, v90, 0x3abb, -v124
	v_add_f16_e32 v107, v107, v147
	v_add_f16_e32 v92, v116, v92
	v_fma_f16 v116, v59, 0xb08e, -v117
	v_add_f16_e32 v109, v118, v109
	v_fmamk_f16 v118, v58, 0xb08e, v119
	v_fmac_f16_e32 v159, 0xb08e, v91
	v_add_f16_e32 v121, v121, v135
	v_fmac_f16_e32 v125, 0xb93d, v86
	v_add_f16_e32 v17, v120, v17
	v_fma_f16 v120, v62, 0xb93d, -v126
	v_add_f16_e32 v107, v116, v107
	v_fma_f16 v116, v90, 0xb08e, -v160
	v_add_f16_e32 v92, v118, v92
	v_add_f16_e32 v118, v159, v134
	v_fmac_f16_e32 v163, 0x3abb, v86
	v_add_f16_e32 v121, v125, v121
	v_add_f16_e32 v17, v120, v17
	v_fmac_f16_e32 v127, 0x36a6, v61
	v_fma_f16 v110, v60, 0x36a6, -v110
	v_add_f16_e32 v116, v116, v139
	v_add_f16_e32 v118, v163, v118
	v_fma_f16 v122, v62, 0x3abb, -v164
	v_fmac_f16_e32 v171, 0xbbad, v61
	v_add_f16_e32 v121, v127, v121
	v_add_f16_e32 v17, v110, v17
	v_fmac_f16_e32 v117, 0xb08e, v59
	v_fma_f16 v110, v58, 0xb08e, -v119
	v_add_f16_e32 v116, v122, v116
	v_add_f16_e32 v118, v171, v118
	v_fma_f16 v120, v60, 0xbbad, -v172
	v_fmac_f16_e32 v112, 0x36a6, v59
	v_add_f16_e32 v117, v117, v121
	v_add_f16_e32 v17, v110, v17
	v_fmac_f16_e32 v105, 0xb93d, v91
	v_add_f16_e32 v116, v120, v116
	v_pack_b32_f16 v119, v109, v111
	v_add_f16_e32 v109, v112, v118
	v_pack_b32_f16 v118, v107, v92
	v_pack_b32_f16 v120, v117, v17
	v_fma_f16 v17, v90, 0xb93d, -v108
	v_fma_f16 v92, v90, 0xbbad, -v106
	v_add_f16_e32 v105, v105, v132
	v_fmac_f16_e32 v97, 0xbbad, v86
	v_fma_f16 v104, v62, 0xbbad, -v104
	v_add_f16_e32 v17, v17, v137
	v_add_f16_e32 v92, v92, v138
	v_fma_f16 v98, v62, 0x36a6, -v98
	v_add_f16_e32 v97, v97, v105
	v_fmac_f16_e32 v95, 0xb08e, v61
	v_fma_f16 v90, v90, 0x36a6, -v158
	v_fmac_f16_e32 v103, 0xbbad, v91
	v_add_f16_e32 v17, v104, v17
	v_add_f16_e32 v92, v98, v92
	;; [unrolled: 1-line block ×3, first 2 shown]
	v_fma_f16 v94, v60, 0xb08e, -v94
	v_fma_f16 v97, v60, 0x3abb, -v156
	v_fmac_f16_e32 v114, 0x3abb, v59
	v_fmac_f16_e32 v157, 0x36a6, v91
	v_add_f16_e32 v90, v90, v136
	v_fma_f16 v62, v62, 0xb08e, -v162
	v_add_f16_e32 v103, v103, v133
	v_fmac_f16_e32 v96, 0x36a6, v86
	v_fmac_f16_e32 v93, 0x3abb, v61
	v_add_f16_e32 v17, v94, v17
	v_add_f16_e32 v92, v97, v92
	;; [unrolled: 1-line block ×3, first 2 shown]
	v_fma_f16 v94, v58, 0xb93d, -v168
	v_add_f16_e32 v95, v157, v131
	v_fmac_f16_e32 v161, 0xb08e, v86
	v_fma_f16 v86, v58, 0x3abb, -v113
	v_fmac_f16_e32 v166, 0xb93d, v61
	v_add_f16_e32 v61, v62, v90
	v_fma_f16 v60, v60, 0xb93d, -v167
	v_fma_f16 v115, v58, 0x36a6, -v115
	v_add_f16_e32 v96, v96, v103
	v_fmac_f16_e32 v165, 0xb93d, v59
	v_add_f16_e32 v92, v94, v92
	v_add_f16_e32 v94, v161, v95
	;; [unrolled: 1-line block ×3, first 2 shown]
	v_fmac_f16_e32 v169, 0xbbad, v59
	v_add_f16_e32 v59, v60, v61
	v_sub_f16_e32 v60, v101, v28
	v_fma_f16 v58, v58, 0xbbad, -v170
	v_add_f16_e32 v110, v115, v116
	v_add_f16_e32 v93, v93, v96
	;; [unrolled: 1-line block ×3, first 2 shown]
	v_pack_b32_f16 v123, v91, v17
	v_mul_f16_e32 v17, 0xb853, v56
	v_add_f16_e32 v107, v87, v45
	v_mul_f16_e32 v56, 0xb853, v60
	v_add_f16_e32 v58, v58, v59
	v_sub_f16_e32 v59, v100, v18
	v_pack_b32_f16 v121, v109, v110
	v_add_f16_e32 v93, v165, v93
	v_add_f16_e32 v61, v169, v62
	v_fmamk_f16 v62, v41, 0x3abb, v17
	v_mul_f16_e32 v54, 0xbb47, v54
	v_fma_f16 v86, v107, 0x3abb, -v56
	v_add_f16_e32 v109, v66, v46
	v_mul_f16_e32 v103, 0xbb47, v59
	v_pack_b32_f16 v122, v93, v92
	v_add_f16_e32 v62, v16, v62
	v_fmamk_f16 v90, v26, 0x36a6, v54
	v_mul_f16_e32 v106, 0xbb47, v60
	v_add_f16_sdwa v86, v16, v86 dst_sel:DWORD dst_unused:UNUSED_PAD src0_sel:WORD_1 src1_sel:DWORD
	v_fma_f16 v91, v109, 0x36a6, -v103
	v_mul_f16_e32 v92, 0xbbeb, v60
	v_add_f16_e32 v62, v90, v62
	v_fma_f16 v90, v107, 0x36a6, -v106
	v_mul_f16_e32 v108, 0xba0c, v59
	v_add_f16_e32 v86, v91, v86
	v_fmamk_f16 v91, v107, 0xb08e, v92
	v_mul_f16_e32 v93, 0x3482, v59
	v_add_f16_sdwa v90, v16, v90 dst_sel:DWORD dst_unused:UNUSED_PAD src0_sel:WORD_1 src1_sel:DWORD
	v_fma_f16 v94, v109, 0xb93d, -v108
	v_add_f16_e32 v95, v16, v183
	v_add_f16_sdwa v91, v16, v91 dst_sel:DWORD dst_unused:UNUSED_PAD src0_sel:WORD_1 src1_sel:DWORD
	v_fmamk_f16 v96, v109, 0xbbad, v93
	v_mul_f16_e32 v97, 0xba0c, v60
	v_fma_f16 v92, v107, 0xb08e, -v92
	v_add_f16_e32 v90, v94, v90
	v_add_f16_e32 v94, v184, v95
	v_add_f16_e32 v91, v96, v91
	v_fmamk_f16 v95, v107, 0xb93d, v97
	v_add_f16_sdwa v92, v16, v92 dst_sel:DWORD dst_unused:UNUSED_PAD src0_sel:WORD_1 src1_sel:DWORD
	v_mul_f16_e32 v96, 0x3beb, v59
	v_fma_f16 v93, v109, 0xbbad, -v93
	v_fma_f16 v97, v107, 0xb93d, -v97
	v_mul_f16_e32 v60, 0xb482, v60
	v_add_f16_sdwa v95, v16, v95 dst_sel:DWORD dst_unused:UNUSED_PAD src0_sel:WORD_1 src1_sel:DWORD
	v_fmamk_f16 v98, v109, 0xb08e, v96
	v_add_f16_e32 v92, v93, v92
	v_add_f16_sdwa v93, v16, v97 dst_sel:DWORD dst_unused:UNUSED_PAD src0_sel:WORD_1 src1_sel:DWORD
	v_fma_f16 v96, v109, 0xb08e, -v96
	v_fmamk_f16 v97, v107, 0xbbad, v60
	v_mul_f16_e32 v59, 0x3853, v59
	v_add_f16_e32 v95, v98, v95
	v_fma_f16 v60, v107, 0xbbad, -v60
	v_add_f16_e32 v93, v96, v93
	v_add_f16_sdwa v96, v16, v97 dst_sel:DWORD dst_unused:UNUSED_PAD src0_sel:WORD_1 src1_sel:DWORD
	v_sub_f16_e32 v97, v99, v27
	v_fmamk_f16 v98, v109, 0x3abb, v59
	v_mul_f16_e32 v104, 0xbbeb, v52
	v_add_f16_sdwa v60, v16, v60 dst_sel:DWORD dst_unused:UNUSED_PAD src0_sel:WORD_1 src1_sel:DWORD
	v_add_f16_e32 v113, v65, v49
	v_mul_f16_e32 v105, 0xbbeb, v97
	v_fma_f16 v52, v109, 0x3abb, -v59
	v_add_f16_e32 v59, v98, v96
	v_mul_f16_e32 v111, 0x3482, v97
	v_fmamk_f16 v96, v24, 0xb08e, v104
	v_fma_f16 v98, v113, 0xb08e, -v105
	v_add_f16_e32 v52, v52, v60
	v_mul_f16_e32 v60, 0x3b47, v97
	v_fma_f16 v110, v113, 0xbbad, -v111
	v_add_f16_e32 v62, v96, v62
	v_mul_f16_e32 v96, 0xb853, v97
	v_add_f16_e32 v86, v98, v86
	v_fmamk_f16 v98, v113, 0x36a6, v60
	v_add_f16_e32 v90, v110, v90
	v_fma_f16 v60, v113, 0x36a6, -v60
	v_fmamk_f16 v110, v113, 0x3abb, v96
	v_fma_f16 v96, v113, 0x3abb, -v96
	v_mul_f16_e32 v97, 0xba0c, v97
	v_mul_f16_e32 v20, 0x3beb, v50
	v_add_f16_e32 v60, v60, v92
	v_add_f16_e32 v92, v110, v95
	v_sub_f16_e32 v95, v89, v29
	v_add_f16_e32 v93, v96, v93
	v_fmamk_f16 v96, v113, 0xb93d, v97
	v_mul_f16_e32 v50, 0xba0c, v50
	v_fma_f16 v97, v113, 0xb93d, -v97
	v_add_f16_e32 v94, v186, v94
	v_add_f16_e32 v117, v64, v53
	v_mul_f16_e32 v110, 0xba0c, v95
	v_add_f16_e32 v59, v96, v59
	v_fmamk_f16 v96, v23, 0xb93d, v50
	v_add_f16_e32 v52, v97, v52
	v_mul_f16_e32 v97, 0xb853, v95
	v_add_f16_e32 v91, v98, v91
	v_mul_f16_e32 v114, 0x3beb, v95
	v_fma_f16 v98, v117, 0xb93d, -v110
	v_add_f16_e32 v62, v96, v62
	v_mul_f16_e32 v96, 0xb482, v95
	v_add_f16_e32 v124, v188, v94
	v_fma_f16 v94, v117, 0x3abb, -v97
	v_fma_f16 v112, v117, 0xb08e, -v114
	v_add_f16_e32 v86, v98, v86
	v_fmamk_f16 v98, v117, 0x3abb, v97
	v_fmamk_f16 v97, v117, 0xbbad, v96
	v_mul_f16_e32 v95, 0x3b47, v95
	v_add_f16_e32 v60, v94, v60
	v_sub_f16_e32 v94, v88, v30
	v_mul_f16_e32 v145, 0xba0c, v48
	v_mul_f16_e32 v19, 0x3853, v48
	v_add_f16_e32 v90, v112, v90
	v_fma_f16 v96, v117, 0xbbad, -v96
	v_add_f16_e32 v92, v97, v92
	v_fmamk_f16 v97, v117, 0x36a6, v95
	v_mul_f16_e32 v48, 0xb482, v48
	v_add_f16_e32 v116, v63, v55
	v_mul_f16_e32 v112, 0xb482, v94
	v_fma_f16 v95, v117, 0x36a6, -v95
	v_mul_f16_e32 v115, 0x3853, v94
	v_add_f16_e32 v93, v96, v93
	v_add_f16_e32 v59, v97, v59
	v_fmamk_f16 v96, v22, 0xbbad, v48
	v_fma_f16 v97, v116, 0xbbad, -v112
	v_mul_f16_e32 v125, 0xba0c, v94
	v_add_f16_e32 v52, v95, v52
	v_fma_f16 v95, v116, 0x3abb, -v115
	v_fmamk_f16 v187, v23, 0xb08e, v20
	v_add_f16_e32 v91, v98, v91
	v_add_f16_e32 v96, v96, v62
	;; [unrolled: 1-line block ×3, first 2 shown]
	v_fmamk_f16 v62, v116, 0xb93d, v125
	v_mul_f16_e32 v86, 0x3b47, v94
	v_add_f16_e32 v97, v95, v90
	v_mul_f16_e32 v90, 0xbbeb, v94
	v_fma_f16 v95, v116, 0xb93d, -v125
	v_fma_f16 v102, v22, 0xb93d, -v145
	v_fmac_f16_e32 v145, 0xb93d, v22
	v_fmamk_f16 v189, v22, 0x3abb, v19
	v_fmac_f16_e32 v154, 0x36a6, v22
	v_fmac_f16_e32 v155, 0xb08e, v22
	v_add_f16_e32 v140, v187, v140
	v_add_f16_e32 v94, v62, v91
	v_fmamk_f16 v62, v116, 0x36a6, v86
	v_fma_f16 v86, v116, 0x36a6, -v86
	v_fmamk_f16 v91, v116, 0xb08e, v90
	v_add_f16_e32 v95, v95, v60
	v_fma_f16 v60, v116, 0xb08e, -v90
	v_add_f16_e32 v44, v189, v140
	v_add_f16_e32 v43, v145, v141
	;; [unrolled: 1-line block ×7, first 2 shown]
	v_pack_b32_f16 v125, v61, v58
	v_add_f16_e32 v91, v60, v52
	v_add_nc_u32_e32 v59, 0x4d0, v42
	v_add_nc_u32_e32 v60, 0x738, v42
	;; [unrolled: 1-line block ×5, first 2 shown]
	v_add_f16_e32 v52, v102, v124
	v_lshrrev_b32_e32 v86, 1, v31
	ds_write2_b32 v85, v119, v118 offset0:8 offset1:10
	ds_write2_b32 v85, v120, v121 offset0:12 offset1:14
	;; [unrolled: 1-line block ×3, first 2 shown]
	ds_write_b32 v85, v125 offset:80
	s_and_saveexec_b32 s0, vcc_lo
	s_cbranch_execz .LBB0_5
; %bb.4:
	v_mul_f16_e32 v42, 0x3abb, v41
	v_mul_f16_e32 v41, 0x36a6, v41
	;; [unrolled: 1-line block ×6, first 2 shown]
	v_sub_f16_e32 v41, v41, v47
	v_mul_f16_e32 v102, 0x3abb, v107
	v_sub_f16_e32 v25, v26, v25
	v_mul_f16_e32 v107, 0x36a6, v107
	v_sub_f16_e32 v21, v24, v21
	v_add_f16_e32 v41, v16, v41
	v_add_f16_sdwa v24, v16, v87 dst_sel:DWORD dst_unused:UNUSED_PAD src0_sel:WORD_1 src1_sel:DWORD
	v_mul_f16_e32 v121, 0xb08e, v113
	v_add_f16_e32 v106, v106, v107
	v_mul_f16_e32 v107, 0xbbad, v113
	v_add_f16_e32 v25, v25, v41
	v_add_f16_e32 v41, v16, v101
	v_mul_f16_e32 v113, 0xb93d, v23
	v_mul_f16_e32 v23, 0xb08e, v23
	v_add_f16_e32 v24, v24, v66
	v_add_f16_e32 v21, v21, v25
	;; [unrolled: 1-line block ×3, first 2 shown]
	v_sub_f16_e32 v17, v42, v17
	v_sub_f16_e32 v20, v23, v20
	v_add_f16_e32 v24, v24, v65
	v_mul_f16_e32 v119, 0x36a6, v109
	v_add_f16_e32 v25, v41, v99
	v_add_f16_e32 v41, v56, v102
	;; [unrolled: 1-line block ×4, first 2 shown]
	v_add_f16_sdwa v106, v16, v106 dst_sel:DWORD dst_unused:UNUSED_PAD src0_sel:WORD_1 src1_sel:DWORD
	v_add_f16_e32 v21, v25, v89
	v_add_f16_sdwa v25, v16, v41 dst_sel:DWORD dst_unused:UNUSED_PAD src0_sel:WORD_1 src1_sel:DWORD
	v_add_f16_e32 v16, v16, v17
	v_add_f16_e32 v24, v24, v63
	v_mul_f16_e32 v109, 0xb93d, v109
	v_add_f16_e32 v17, v21, v88
	v_sub_f16_e32 v21, v118, v54
	v_add_f16_e32 v41, v103, v119
	v_mul_f16_e32 v122, 0xb93d, v117
	v_add_f16_e32 v108, v108, v109
	v_add_f16_e32 v17, v17, v30
	;; [unrolled: 1-line block ×6, first 2 shown]
	v_sub_f16_e32 v24, v120, v104
	v_add_f16_e32 v17, v17, v29
	v_add_f16_e32 v21, v21, v53
	v_mul_f16_e32 v47, 0xb08e, v117
	v_mul_f16_e32 v109, 0xbbad, v22
	v_add_f16_e32 v106, v108, v106
	v_add_f16_e32 v107, v111, v107
	v_mul_f16_e32 v26, 0xbbad, v116
	v_add_f16_e32 v25, v41, v25
	v_add_f16_e32 v29, v110, v122
	;; [unrolled: 1-line block ×3, first 2 shown]
	v_sub_f16_e32 v24, v113, v50
	v_add_f16_e32 v17, v17, v27
	v_add_f16_e32 v21, v21, v49
	v_mul_f16_e32 v22, 0x3abb, v22
	v_add_f16_e32 v106, v107, v106
	v_add_f16_e32 v47, v114, v47
	v_mul_f16_e32 v87, 0x3abb, v116
	v_add_f16_e32 v25, v29, v25
	v_add_f16_e32 v26, v112, v26
	;; [unrolled: 1-line block ×4, first 2 shown]
	v_mul_u32_u24_e32 v18, 22, v86
	v_add_f16_e32 v21, v21, v46
	v_sub_f16_e32 v24, v109, v48
	v_add_f16_e32 v47, v47, v106
	v_add_f16_e32 v23, v115, v87
	;; [unrolled: 1-line block ×4, first 2 shown]
	v_or_b32_e32 v18, v18, v84
	v_add_f16_e32 v21, v21, v45
	v_add_f16_e32 v16, v24, v16
	v_sub_f16_e32 v19, v22, v19
	v_add_f16_e32 v22, v23, v47
	v_lshl_add_u32 v18, v18, 2, v83
	v_pack_b32_f16 v17, v17, v21
	v_pack_b32_f16 v16, v16, v25
	v_add_f16_e32 v19, v19, v20
	v_perm_b32 v20, v90, v38, 0x5040100
	v_perm_b32 v21, v91, v39, 0x5040100
	;; [unrolled: 1-line block ×3, first 2 shown]
	ds_write2_b32 v18, v17, v16 offset1:2
	v_pack_b32_f16 v16, v19, v22
	v_perm_b32 v17, v94, v52, 0x5040100
	v_perm_b32 v19, v92, v37, 0x5040100
	;; [unrolled: 1-line block ×5, first 2 shown]
	ds_write2_b32 v18, v16, v17 offset0:4 offset1:6
	ds_write2_b32 v18, v19, v20 offset0:8 offset1:10
	;; [unrolled: 1-line block ×4, first 2 shown]
	ds_write_b32 v18, v25 offset:80
.LBB0_5:
	s_or_b32 exec_lo, exec_lo, s0
	v_lshrrev_b16 v16, 1, v79
	v_lshrrev_b16 v17, 1, v31
	s_waitcnt lgkmcnt(0)
	s_barrier
	buffer_gl0_inv
	v_and_b32_e32 v16, 0x7f, v16
	v_add_nc_u32_e32 v102, 0x400, v78
	v_add_nc_u32_e32 v101, 0x600, v78
	v_add_nc_u32_e32 v100, 0x800, v78
	v_add_nc_u32_e32 v99, 0xc00, v78
	v_mul_lo_u16 v16, 0xbb, v16
	v_mov_b32_e32 v87, 0x9a
	v_mad_u64_u32 v[55:56], null, v79, 24, s[14:15]
	v_lshrrev_b16 v63, 11, v16
	v_and_b32_e32 v16, 0x7f, v17
	v_mul_lo_u16 v17, v63, 22
	v_mul_lo_u16 v16, 0xbb, v16
	v_mul_u32_u24_sdwa v63, v63, v87 dst_sel:DWORD dst_unused:UNUSED_PAD src0_sel:WORD_0 src1_sel:DWORD
	v_sub_nc_u16 v17, v79, v17
	v_lshrrev_b16 v64, 11, v16
	v_and_b32_e32 v65, 0xff, v17
	v_mul_lo_u16 v18, v64, 22
	v_mul_u32_u24_sdwa v64, v64, v87 dst_sel:DWORD dst_unused:UNUSED_PAD src0_sel:WORD_0 src1_sel:DWORD
	v_mad_u64_u32 v[16:17], null, v65, 24, s[14:15]
	v_sub_nc_u16 v18, v31, v18
	v_add_nc_u32_e32 v63, v63, v65
	v_and_b32_e32 v66, 0xff, v18
	global_load_dwordx4 v[20:23], v[16:17], off offset:80
	v_lshl_add_u32 v88, v63, 2, v83
	v_mad_u64_u32 v[24:25], null, v66, 24, s[14:15]
	v_add_nc_u32_e32 v64, v64, v66
	s_clause 0x2
	global_load_dwordx2 v[45:46], v[16:17], off offset:96
	global_load_dwordx4 v[16:19], v[24:25], off offset:80
	global_load_dwordx2 v[41:42], v[24:25], off offset:96
	ds_read2_b32 v[24:25], v78 offset0:154 offset1:231
	ds_read2_b32 v[26:27], v102 offset0:52 offset1:129
	;; [unrolled: 1-line block ×6, first 2 shown]
	ds_read2_b32 v[53:54], v78 offset1:77
	v_lshl_add_u32 v87, v64, 2, v83
	s_waitcnt vmcnt(0) lgkmcnt(0)
	s_barrier
	buffer_gl0_inv
	v_lshrrev_b32_e32 v104, 16, v26
	v_lshrrev_b32_e32 v105, 16, v28
	;; [unrolled: 1-line block ×12, first 2 shown]
	v_mul_f16_sdwa v63, v89, v20 dst_sel:DWORD dst_unused:UNUSED_PAD src0_sel:DWORD src1_sel:WORD_1
	v_mul_f16_sdwa v64, v24, v20 dst_sel:DWORD dst_unused:UNUSED_PAD src0_sel:DWORD src1_sel:WORD_1
	;; [unrolled: 1-line block ×8, first 2 shown]
	v_fma_f16 v24, v24, v20, -v63
	v_mul_f16_sdwa v118, v107, v45 dst_sel:DWORD dst_unused:UNUSED_PAD src0_sel:DWORD src1_sel:WORD_1
	v_mul_f16_sdwa v119, v47, v45 dst_sel:DWORD dst_unused:UNUSED_PAD src0_sel:DWORD src1_sel:WORD_1
	;; [unrolled: 1-line block ×16, first 2 shown]
	v_fmac_f16_e32 v64, v89, v20
	v_fma_f16 v26, v26, v21, -v112
	v_fmac_f16_e32 v113, v104, v21
	v_fma_f16 v47, v47, v45, -v118
	;; [unrolled: 2-line block ×11, first 2 shown]
	v_fmac_f16_e32 v129, v65, v19
	v_add_f16_e32 v63, v24, v49
	v_add_f16_e32 v65, v64, v121
	v_sub_f16_e32 v24, v24, v49
	v_sub_f16_e32 v49, v64, v121
	v_add_f16_e32 v64, v26, v47
	v_add_f16_e32 v66, v113, v119
	v_sub_f16_e32 v26, v26, v47
	v_sub_f16_e32 v47, v113, v119
	;; [unrolled: 4-line block ×3, first 2 shown]
	v_add_f16_e32 v104, v25, v50
	v_add_f16_e32 v105, v123, v133
	v_add_f16_e32 v106, v27, v48
	v_add_f16_e32 v107, v125, v131
	v_sub_f16_e32 v25, v25, v50
	v_sub_f16_e32 v50, v123, v133
	;; [unrolled: 1-line block ×4, first 2 shown]
	v_add_f16_e32 v108, v29, v31
	v_sub_f16_e32 v29, v31, v29
	v_sub_f16_e32 v31, v129, v127
	v_add_f16_e32 v110, v64, v63
	v_add_f16_e32 v111, v66, v65
	;; [unrolled: 1-line block ×3, first 2 shown]
	v_sub_f16_e32 v112, v64, v63
	v_sub_f16_e32 v113, v66, v65
	;; [unrolled: 1-line block ×6, first 2 shown]
	v_add_f16_e32 v114, v28, v26
	v_add_f16_e32 v115, v30, v47
	v_sub_f16_e32 v116, v28, v26
	v_sub_f16_e32 v117, v30, v47
	;; [unrolled: 1-line block ×4, first 2 shown]
	v_add_f16_e32 v118, v106, v104
	v_add_f16_e32 v119, v107, v105
	v_sub_f16_e32 v120, v106, v104
	v_sub_f16_e32 v106, v108, v106
	v_add_f16_e32 v122, v29, v27
	v_add_f16_e32 v123, v31, v48
	v_sub_f16_e32 v124, v29, v27
	v_sub_f16_e32 v125, v31, v48
	v_sub_f16_e32 v27, v27, v25
	v_sub_f16_e32 v48, v48, v50
	v_add_f16_e32 v89, v89, v110
	v_add_f16_e32 v103, v103, v111
	v_sub_f16_e32 v28, v24, v28
	v_sub_f16_e32 v30, v49, v30
	;; [unrolled: 1-line block ×6, first 2 shown]
	v_add_f16_e32 v24, v114, v24
	v_add_f16_e32 v49, v115, v49
	v_mul_f16_e32 v63, 0x3a52, v63
	v_mul_f16_e32 v65, 0x3a52, v65
	;; [unrolled: 1-line block ×8, first 2 shown]
	v_add_f16_e32 v108, v108, v118
	v_add_f16_e32 v109, v109, v119
	v_sub_f16_e32 v29, v25, v29
	v_sub_f16_e32 v31, v50, v31
	v_add_f16_e32 v25, v122, v25
	v_add_f16_e32 v50, v123, v50
	v_mul_f16_e32 v118, 0x2b26, v106
	v_mul_f16_e32 v122, 0xb846, v124
	;; [unrolled: 1-line block ×5, first 2 shown]
	v_add_f16_e32 v126, v53, v89
	v_add_f16_sdwa v53, v53, v103 dst_sel:DWORD dst_unused:UNUSED_PAD src0_sel:WORD_1 src1_sel:DWORD
	v_mul_f16_e32 v104, 0x3a52, v104
	v_mul_f16_e32 v105, 0x3a52, v105
	v_fmamk_f16 v64, v64, 0x2b26, v63
	v_fmamk_f16 v66, v66, 0x2b26, v65
	v_fma_f16 v110, v112, 0x39e0, -v110
	v_fma_f16 v111, v113, 0x39e0, -v111
	;; [unrolled: 1-line block ×4, first 2 shown]
	v_fmamk_f16 v112, v28, 0x3574, v114
	v_fmamk_f16 v113, v30, 0x3574, v115
	v_fma_f16 v26, v26, 0x3b00, -v114
	v_fma_f16 v47, v47, 0x3b00, -v115
	;; [unrolled: 1-line block ×4, first 2 shown]
	v_add_f16_e32 v114, v54, v108
	v_add_f16_sdwa v54, v54, v109 dst_sel:DWORD dst_unused:UNUSED_PAD src0_sel:WORD_1 src1_sel:DWORD
	v_mul_f16_e32 v119, 0x2b26, v107
	v_fma_f16 v115, v120, 0x39e0, -v118
	v_fmamk_f16 v117, v29, 0x3574, v122
	v_fmamk_f16 v118, v31, 0x3574, v123
	v_fma_f16 v27, v27, 0x3b00, -v122
	v_fma_f16 v48, v48, 0x3b00, -v123
	;; [unrolled: 1-line block ×4, first 2 shown]
	v_fmamk_f16 v89, v89, 0xbcab, v126
	v_fmamk_f16 v103, v103, 0xbcab, v53
	v_fmamk_f16 v106, v106, 0x2b26, v104
	v_fmamk_f16 v107, v107, 0x2b26, v105
	v_fmac_f16_e32 v112, 0x370e, v24
	v_fmac_f16_e32 v113, 0x370e, v49
	;; [unrolled: 1-line block ×6, first 2 shown]
	v_fmamk_f16 v24, v108, 0xbcab, v114
	v_fmamk_f16 v49, v109, 0xbcab, v54
	v_fma_f16 v116, v121, 0x39e0, -v119
	v_fma_f16 v104, v120, 0xb9e0, -v104
	;; [unrolled: 1-line block ×3, first 2 shown]
	v_fmac_f16_e32 v117, 0x370e, v25
	v_fmac_f16_e32 v118, 0x370e, v50
	;; [unrolled: 1-line block ×6, first 2 shown]
	v_pack_b32_f16 v25, v126, v53
	v_pack_b32_f16 v50, v114, v54
	v_add_f16_e32 v53, v64, v89
	v_add_f16_e32 v54, v66, v103
	;; [unrolled: 1-line block ×13, first 2 shown]
	v_sub_f16_e32 v105, v54, v112
	v_add_f16_e32 v108, v30, v63
	v_sub_f16_e32 v109, v65, v28
	v_sub_f16_e32 v110, v64, v47
	v_add_f16_e32 v111, v26, v66
	v_add_f16_e32 v47, v47, v64
	v_sub_f16_e32 v26, v66, v26
	v_sub_f16_e32 v30, v63, v30
	v_add_f16_e32 v28, v28, v65
	v_sub_f16_e32 v53, v53, v113
	v_add_f16_e32 v54, v112, v54
	v_add_f16_e32 v63, v118, v89
	v_sub_f16_e32 v64, v103, v117
	v_add_f16_e32 v65, v31, v24
	v_sub_f16_e32 v66, v49, v29
	v_sub_f16_e32 v112, v106, v48
	v_add_f16_e32 v113, v27, v107
	v_add_f16_e32 v48, v48, v106
	v_sub_f16_e32 v27, v107, v27
	v_sub_f16_e32 v24, v24, v31
	v_add_f16_e32 v29, v29, v49
	v_sub_f16_e32 v31, v89, v118
	v_add_f16_e32 v49, v117, v103
	v_pack_b32_f16 v89, v104, v105
	v_pack_b32_f16 v103, v108, v109
	;; [unrolled: 1-line block ×12, first 2 shown]
	ds_write2_b32 v88, v25, v89 offset1:22
	ds_write2_b32 v88, v103, v104 offset0:44 offset1:66
	ds_write2_b32 v88, v26, v28 offset0:88 offset1:110
	ds_write_b32 v88, v30 offset:528
	ds_write2_b32 v87, v50, v47 offset1:22
	ds_write2_b32 v87, v53, v54 offset0:44 offset1:66
	ds_write2_b32 v87, v27, v24 offset0:88 offset1:110
	ds_write_b32 v87, v29 offset:528
	v_add_co_u32 v47, s0, 0x738, v55
	v_add_co_ci_u32_e64 v48, s0, 0, v56, s0
	s_waitcnt lgkmcnt(0)
	s_barrier
	buffer_gl0_inv
	s_clause 0x3
	global_load_dwordx4 v[28:31], v[55:56], off offset:608
	global_load_dwordx2 v[49:50], v[55:56], off offset:624
	global_load_dwordx4 v[24:27], v[47:48], off offset:608
	global_load_dwordx2 v[47:48], v[47:48], off offset:624
	v_lshlrev_b32_e32 v53, 2, v79
	v_lshl_add_u32 v89, v79, 2, v83
	v_add_nc_u32_e32 v63, 0x200, v78
	v_add_nc_u32_e32 v66, 0x300, v78
	v_add_co_u32 v117, s0, s12, v53
	ds_read2_b32 v[53:54], v78 offset0:154 offset1:231
	ds_read2_b32 v[55:56], v102 offset0:52 offset1:129
	;; [unrolled: 1-line block ×6, first 2 shown]
	ds_read2_b32 v[115:116], v78 offset1:77
	v_add_co_ci_u32_e64 v118, null, s13, 0, s0
	v_add_co_u32 v109, s0, 0x10d8, v117
	v_add_nc_u32_e32 v119, 0x900, v89
	v_add_co_ci_u32_e64 v110, s0, 0, v118, s0
	v_add_co_u32 v111, s0, 0x1000, v117
	v_add_co_ci_u32_e64 v112, s0, 0, v118, s0
	v_add_co_u32 v113, s0, 0x1800, v117
	s_waitcnt lgkmcnt(6)
	v_lshrrev_b32_e32 v120, 16, v53
	s_waitcnt lgkmcnt(5)
	v_lshrrev_b32_e32 v121, 16, v55
	s_waitcnt lgkmcnt(4)
	v_lshrrev_b32_e32 v122, 16, v64
	s_waitcnt lgkmcnt(3)
	v_lshrrev_b32_e32 v123, 16, v103
	s_waitcnt lgkmcnt(2)
	v_lshrrev_b32_e32 v124, 16, v105
	s_waitcnt lgkmcnt(1)
	v_lshrrev_b32_e32 v125, 16, v107
	v_lshrrev_b32_e32 v126, 16, v54
	v_lshrrev_b32_e32 v127, 16, v56
	;; [unrolled: 1-line block ×6, first 2 shown]
	v_add_co_ci_u32_e64 v114, s0, 0, v118, s0
	s_waitcnt vmcnt(2)
	v_mul_f16_sdwa v140, v124, v49 dst_sel:DWORD dst_unused:UNUSED_PAD src0_sel:DWORD src1_sel:WORD_1
	v_mul_f16_sdwa v132, v120, v28 dst_sel:DWORD dst_unused:UNUSED_PAD src0_sel:DWORD src1_sel:WORD_1
	;; [unrolled: 1-line block ×12, first 2 shown]
	s_waitcnt vmcnt(1)
	v_mul_f16_sdwa v144, v126, v24 dst_sel:DWORD dst_unused:UNUSED_PAD src0_sel:DWORD src1_sel:WORD_1
	v_mul_f16_sdwa v145, v54, v24 dst_sel:DWORD dst_unused:UNUSED_PAD src0_sel:DWORD src1_sel:WORD_1
	;; [unrolled: 1-line block ×4, first 2 shown]
	s_waitcnt vmcnt(0)
	v_mul_f16_sdwa v152, v130, v47 dst_sel:DWORD dst_unused:UNUSED_PAD src0_sel:DWORD src1_sel:WORD_1
	v_mul_f16_sdwa v153, v106, v47 dst_sel:DWORD dst_unused:UNUSED_PAD src0_sel:DWORD src1_sel:WORD_1
	;; [unrolled: 1-line block ×8, first 2 shown]
	v_fma_f16 v53, v53, v28, -v132
	v_fmac_f16_e32 v133, v120, v28
	v_fma_f16 v55, v55, v29, -v134
	v_fmac_f16_e32 v135, v121, v29
	;; [unrolled: 2-line block ×12, first 2 shown]
	v_add_f16_e32 v120, v53, v107
	v_add_f16_e32 v121, v133, v143
	;; [unrolled: 1-line block ×4, first 2 shown]
	v_sub_f16_e32 v53, v53, v107
	v_sub_f16_e32 v107, v133, v143
	;; [unrolled: 1-line block ×4, first 2 shown]
	v_add_f16_e32 v124, v64, v103
	v_add_f16_e32 v125, v137, v139
	v_sub_f16_e32 v64, v103, v64
	v_sub_f16_e32 v103, v139, v137
	v_add_f16_e32 v126, v54, v108
	v_add_f16_e32 v127, v145, v155
	;; [unrolled: 1-line block ×4, first 2 shown]
	v_sub_f16_e32 v54, v54, v108
	v_sub_f16_e32 v108, v145, v155
	;; [unrolled: 1-line block ×4, first 2 shown]
	v_add_f16_e32 v130, v65, v104
	v_sub_f16_e32 v65, v104, v65
	v_sub_f16_e32 v104, v151, v149
	v_add_f16_e32 v132, v122, v120
	v_add_f16_e32 v133, v123, v121
	;; [unrolled: 1-line block ×3, first 2 shown]
	v_sub_f16_e32 v134, v122, v120
	v_sub_f16_e32 v135, v123, v121
	;; [unrolled: 1-line block ×6, first 2 shown]
	v_add_f16_e32 v136, v64, v55
	v_add_f16_e32 v137, v103, v105
	v_sub_f16_e32 v138, v64, v55
	v_sub_f16_e32 v139, v103, v105
	;; [unrolled: 1-line block ×4, first 2 shown]
	v_add_f16_e32 v140, v128, v126
	v_add_f16_e32 v141, v129, v127
	v_sub_f16_e32 v142, v128, v126
	v_sub_f16_e32 v128, v130, v128
	v_add_f16_e32 v144, v65, v56
	v_add_f16_e32 v145, v104, v106
	v_sub_f16_e32 v146, v65, v56
	v_sub_f16_e32 v147, v104, v106
	;; [unrolled: 1-line block ×4, first 2 shown]
	v_add_f16_e32 v124, v124, v132
	v_add_f16_e32 v125, v125, v133
	v_sub_f16_e32 v64, v53, v64
	v_sub_f16_e32 v103, v107, v103
	;; [unrolled: 1-line block ×6, first 2 shown]
	v_add_f16_e32 v53, v136, v53
	v_add_f16_e32 v107, v137, v107
	v_mul_f16_e32 v120, 0x3a52, v120
	v_mul_f16_e32 v121, 0x3a52, v121
	;; [unrolled: 1-line block ×8, first 2 shown]
	v_add_f16_e32 v130, v130, v140
	v_add_f16_e32 v131, v131, v141
	v_sub_f16_e32 v65, v54, v65
	v_sub_f16_e32 v104, v108, v104
	v_add_f16_e32 v54, v144, v54
	v_add_f16_e32 v108, v145, v108
	v_mul_f16_e32 v140, 0x2b26, v128
	v_mul_f16_e32 v144, 0xb846, v146
	;; [unrolled: 1-line block ×5, first 2 shown]
	s_waitcnt lgkmcnt(0)
	v_add_f16_e32 v148, v115, v124
	v_add_f16_sdwa v115, v115, v125 dst_sel:DWORD dst_unused:UNUSED_PAD src0_sel:WORD_1 src1_sel:DWORD
	v_mul_f16_e32 v126, 0x3a52, v126
	v_mul_f16_e32 v127, 0x3a52, v127
	v_mul_f16_e32 v141, 0x2b26, v129
	v_fmamk_f16 v122, v122, 0x2b26, v120
	v_fmamk_f16 v123, v123, 0x2b26, v121
	v_fma_f16 v132, v134, 0x39e0, -v132
	v_fma_f16 v133, v135, 0x39e0, -v133
	;; [unrolled: 1-line block ×4, first 2 shown]
	v_fmamk_f16 v134, v64, 0x3574, v136
	v_fmamk_f16 v135, v103, 0x3574, v137
	v_fma_f16 v55, v55, 0x3b00, -v136
	v_fma_f16 v105, v105, 0x3b00, -v137
	;; [unrolled: 1-line block ×4, first 2 shown]
	v_add_f16_e32 v136, v116, v130
	v_add_f16_sdwa v116, v116, v131 dst_sel:DWORD dst_unused:UNUSED_PAD src0_sel:WORD_1 src1_sel:DWORD
	v_fma_f16 v137, v142, 0x39e0, -v140
	v_fmamk_f16 v139, v65, 0x3574, v144
	v_fmamk_f16 v140, v104, 0x3574, v145
	v_fma_f16 v56, v56, 0x3b00, -v144
	v_fma_f16 v106, v106, 0x3b00, -v145
	;; [unrolled: 1-line block ×4, first 2 shown]
	v_fmamk_f16 v124, v124, 0xbcab, v148
	v_fmamk_f16 v125, v125, 0xbcab, v115
	;; [unrolled: 1-line block ×4, first 2 shown]
	v_fma_f16 v138, v143, 0x39e0, -v141
	v_fma_f16 v126, v142, 0xb9e0, -v126
	;; [unrolled: 1-line block ×3, first 2 shown]
	v_fmac_f16_e32 v134, 0x370e, v53
	v_fmac_f16_e32 v135, 0x370e, v107
	;; [unrolled: 1-line block ×6, first 2 shown]
	v_fmamk_f16 v53, v130, 0xbcab, v136
	v_fmamk_f16 v107, v131, 0xbcab, v116
	v_fmac_f16_e32 v139, 0x370e, v54
	v_fmac_f16_e32 v140, 0x370e, v108
	;; [unrolled: 1-line block ×6, first 2 shown]
	v_pack_b32_f16 v54, v148, v115
	v_pack_b32_f16 v108, v136, v116
	v_add_f16_e32 v115, v122, v124
	v_add_f16_e32 v116, v123, v125
	;; [unrolled: 1-line block ×13, first 2 shown]
	v_sub_f16_e32 v127, v116, v134
	v_add_f16_e32 v130, v103, v120
	v_sub_f16_e32 v131, v121, v64
	v_sub_f16_e32 v132, v122, v105
	v_add_f16_e32 v133, v55, v123
	v_add_f16_e32 v105, v105, v122
	v_sub_f16_e32 v55, v123, v55
	v_sub_f16_e32 v103, v120, v103
	v_add_f16_e32 v64, v64, v121
	v_sub_f16_e32 v115, v115, v135
	v_add_f16_e32 v116, v134, v116
	v_add_f16_e32 v122, v104, v53
	v_sub_f16_e32 v123, v107, v65
	v_sub_f16_e32 v53, v53, v104
	v_add_f16_e32 v65, v65, v107
	v_add_f16_e32 v120, v140, v124
	v_sub_f16_e32 v121, v125, v139
	;; [unrolled: 4-line block ×3, first 2 shown]
	v_sub_f16_e32 v104, v124, v140
	v_add_f16_e32 v107, v139, v125
	v_pack_b32_f16 v124, v126, v127
	v_pack_b32_f16 v125, v130, v131
	;; [unrolled: 1-line block ×12, first 2 shown]
	ds_write2_b32 v63, v124, v125 offset0:26 offset1:180
	ds_write_b32 v78, v126 offset:1848
	ds_write2_b32 v119, v55, v64 offset0:40 offset1:194
	ds_write_b32 v89, v103 offset:3696
	ds_write2_b32 v78, v54, v108 offset1:77
	ds_write2_b32 v66, v105, v115 offset0:39 offset1:193
	ds_write2_b32 v100, v116, v56 offset0:27 offset1:181
	;; [unrolled: 1-line block ×3, first 2 shown]
	v_add_co_u32 v53, s0, 0x2000, v117
	v_add_co_ci_u32_e64 v54, s0, 0, v118, s0
	s_waitcnt lgkmcnt(0)
	s_barrier
	buffer_gl0_inv
	s_clause 0xd
	global_load_dword v66, v[111:112], off offset:216
	global_load_dword v111, v[113:114], off offset:324
	;; [unrolled: 1-line block ×14, first 2 shown]
	ds_read2_b32 v[53:54], v78 offset1:77
	ds_read2_b32 v[55:56], v101 offset0:78 offset1:155
	ds_read2_b32 v[64:65], v100 offset0:104 offset1:181
	;; [unrolled: 1-line block ×6, first 2 shown]
	s_waitcnt lgkmcnt(6)
	v_lshrrev_b32_e32 v118, 16, v53
	v_lshrrev_b32_e32 v126, 16, v54
	s_waitcnt lgkmcnt(4)
	v_lshrrev_b32_e32 v127, 16, v64
	v_lshrrev_b32_e32 v129, 16, v65
	;; [unrolled: 3-line block ×6, first 2 shown]
	v_lshrrev_b32_e32 v137, 16, v110
	v_lshrrev_b32_e32 v125, 16, v56
	s_waitcnt vmcnt(13)
	v_mul_f16_sdwa v138, v118, v66 dst_sel:DWORD dst_unused:UNUSED_PAD src0_sel:DWORD src1_sel:WORD_1
	v_mul_f16_sdwa v139, v53, v66 dst_sel:DWORD dst_unused:UNUSED_PAD src0_sel:DWORD src1_sel:WORD_1
	s_waitcnt vmcnt(11)
	v_mul_f16_sdwa v142, v126, v112 dst_sel:DWORD dst_unused:UNUSED_PAD src0_sel:DWORD src1_sel:WORD_1
	v_mul_f16_sdwa v143, v54, v112 dst_sel:DWORD dst_unused:UNUSED_PAD src0_sel:DWORD src1_sel:WORD_1
	;; [unrolled: 3-line block ×4, first 2 shown]
	v_mul_f16_sdwa v146, v128, v116 dst_sel:DWORD dst_unused:UNUSED_PAD src0_sel:DWORD src1_sel:WORD_1
	v_mul_f16_sdwa v147, v103, v116 dst_sel:DWORD dst_unused:UNUSED_PAD src0_sel:DWORD src1_sel:WORD_1
	s_waitcnt vmcnt(7)
	v_mul_f16_sdwa v150, v130, v120 dst_sel:DWORD dst_unused:UNUSED_PAD src0_sel:DWORD src1_sel:WORD_1
	v_mul_f16_sdwa v151, v104, v120 dst_sel:DWORD dst_unused:UNUSED_PAD src0_sel:DWORD src1_sel:WORD_1
	s_waitcnt vmcnt(6)
	;; [unrolled: 3-line block ×8, first 2 shown]
	v_mul_f16_sdwa v164, v137, v117 dst_sel:DWORD dst_unused:UNUSED_PAD src0_sel:DWORD src1_sel:WORD_1
	v_mul_f16_sdwa v165, v110, v117 dst_sel:DWORD dst_unused:UNUSED_PAD src0_sel:DWORD src1_sel:WORD_1
	;; [unrolled: 1-line block ×4, first 2 shown]
	v_fma_f16 v53, v53, v66, -v138
	v_fmac_f16_e32 v139, v118, v66
	v_fma_f16 v54, v54, v112, -v142
	v_fmac_f16_e32 v143, v126, v112
	;; [unrolled: 2-line block ×14, first 2 shown]
	v_pack_b32_f16 v53, v53, v139
	v_pack_b32_f16 v54, v54, v143
	;; [unrolled: 1-line block ×14, first 2 shown]
	ds_write2_b32 v78, v53, v54 offset1:77
	ds_write2_b32 v100, v64, v65 offset0:104 offset1:181
	ds_write2_b32 v78, v66, v103 offset0:154 offset1:231
	;; [unrolled: 1-line block ×6, first 2 shown]
	s_waitcnt lgkmcnt(0)
	s_barrier
	buffer_gl0_inv
	ds_read2_b32 v[64:65], v102 offset0:52 offset1:129
	ds_read2_b32 v[54:55], v99 offset0:156 offset1:233
	;; [unrolled: 1-line block ×3, first 2 shown]
	ds_read2_b32 v[105:106], v78 offset1:77
	ds_read2_b32 v[107:108], v100 offset0:104 offset1:181
	ds_read2_b32 v[109:110], v78 offset0:154 offset1:231
	;; [unrolled: 1-line block ×3, first 2 shown]
	s_waitcnt lgkmcnt(0)
	s_barrier
	buffer_gl0_inv
	v_pk_add_f16 v54, v65, v54 neg_lo:[0,1] neg_hi:[0,1]
	v_pk_add_f16 v56, v103, v55 neg_lo:[0,1] neg_hi:[0,1]
	;; [unrolled: 1-line block ×7, first 2 shown]
	v_pk_fma_f16 v114, v105, 2.0, v115 op_sel_hi:[1,0,1] neg_lo:[0,0,1] neg_hi:[0,0,1]
	v_pk_fma_f16 v106, v106, 2.0, v107 op_sel_hi:[1,0,1] neg_lo:[0,0,1] neg_hi:[0,0,1]
	;; [unrolled: 1-line block ×7, first 2 shown]
	ds_write_b64 v51, v[114:115]
	ds_write_b64 v57, v[106:107]
	;; [unrolled: 1-line block ×7, first 2 shown]
	s_waitcnt lgkmcnt(0)
	s_barrier
	buffer_gl0_inv
	ds_read2_b32 v[57:58], v78 offset1:98
	ds_read2_b32 v[65:66], v63 offset0:68 offset1:166
	ds_read2_b32 v[63:64], v102 offset0:136 offset1:234
	;; [unrolled: 1-line block ×4, first 2 shown]
	ds_read_b32 v103, v78 offset:3920
	v_lshrrev_b32_e32 v53, 16, v55
	s_and_saveexec_b32 s0, vcc_lo
	s_cbranch_execz .LBB0_7
; %bb.6:
	ds_read2_b32 v[54:55], v78 offset0:77 offset1:175
	ds_read2_b32 v[51:52], v102 offset0:17 offset1:115
	;; [unrolled: 1-line block ×5, first 2 shown]
	ds_read_b32 v96, v78 offset:4228
	s_waitcnt lgkmcnt(5)
	v_lshrrev_b32_e32 v53, 16, v55
	s_waitcnt lgkmcnt(4)
	v_lshrrev_b32_e32 v94, 16, v52
	;; [unrolled: 2-line block ×3, first 2 shown]
	v_lshrrev_b32_e32 v90, 16, v38
	s_waitcnt lgkmcnt(2)
	v_lshrrev_b32_e32 v91, 16, v39
	v_lshrrev_b32_e32 v93, 16, v40
	s_waitcnt lgkmcnt(1)
	v_lshrrev_b32_e32 v95, 16, v43
	;; [unrolled: 3-line block ×3, first 2 shown]
	v_mov_b32_e32 v56, v51
.LBB0_7:
	s_or_b32 exec_lo, exec_lo, s0
	s_waitcnt lgkmcnt(5)
	v_lshrrev_b32_e32 v51, 16, v58
	s_waitcnt lgkmcnt(4)
	v_lshrrev_b32_e32 v99, 16, v65
	v_mul_f16_sdwa v108, v8, v58 dst_sel:DWORD dst_unused:UNUSED_PAD src0_sel:WORD_1 src1_sel:DWORD
	s_waitcnt lgkmcnt(3)
	v_lshrrev_b32_e32 v101, 16, v63
	v_lshrrev_b32_e32 v100, 16, v66
	v_mul_f16_sdwa v107, v8, v51 dst_sel:DWORD dst_unused:UNUSED_PAD src0_sel:WORD_1 src1_sel:DWORD
	v_mul_f16_sdwa v110, v9, v99 dst_sel:DWORD dst_unused:UNUSED_PAD src0_sel:WORD_1 src1_sel:DWORD
	v_lshrrev_b32_e32 v102, 16, v64
	s_waitcnt lgkmcnt(2)
	v_lshrrev_b32_e32 v104, 16, v61
	v_lshrrev_b32_e32 v105, 16, v62
	v_fmac_f16_e32 v107, v8, v58
	v_fma_f16 v8, v8, v51, -v108
	v_mul_f16_sdwa v51, v9, v65 dst_sel:DWORD dst_unused:UNUSED_PAD src0_sel:WORD_1 src1_sel:DWORD
	v_fmac_f16_e32 v110, v9, v65
	v_mul_f16_sdwa v108, v11, v101 dst_sel:DWORD dst_unused:UNUSED_PAD src0_sel:WORD_1 src1_sel:DWORD
	v_mul_f16_sdwa v58, v10, v100 dst_sel:DWORD dst_unused:UNUSED_PAD src0_sel:WORD_1 src1_sel:DWORD
	;; [unrolled: 1-line block ×3, first 2 shown]
	v_fma_f16 v9, v9, v99, -v51
	v_mul_f16_sdwa v51, v11, v63 dst_sel:DWORD dst_unused:UNUSED_PAD src0_sel:WORD_1 src1_sel:DWORD
	v_fmac_f16_e32 v108, v11, v63
	v_mul_f16_sdwa v63, v12, v102 dst_sel:DWORD dst_unused:UNUSED_PAD src0_sel:WORD_1 src1_sel:DWORD
	v_fmac_f16_e32 v58, v10, v66
	v_fma_f16 v10, v10, v100, -v65
	v_fma_f16 v11, v11, v101, -v51
	v_add_f16_e32 v51, v57, v107
	v_mul_f16_sdwa v65, v12, v64 dst_sel:DWORD dst_unused:UNUSED_PAD src0_sel:WORD_1 src1_sel:DWORD
	v_mul_f16_sdwa v66, v13, v104 dst_sel:DWORD dst_unused:UNUSED_PAD src0_sel:WORD_1 src1_sel:DWORD
	v_fmac_f16_e32 v63, v12, v64
	v_add_f16_sdwa v64, v57, v8 dst_sel:DWORD dst_unused:UNUSED_PAD src0_sel:WORD_1 src1_sel:DWORD
	v_add_f16_e32 v51, v51, v110
	s_waitcnt lgkmcnt(1)
	v_lshrrev_b32_e32 v106, 16, v59
	v_fmac_f16_e32 v66, v13, v61
	v_mul_f16_sdwa v61, v13, v61 dst_sel:DWORD dst_unused:UNUSED_PAD src0_sel:WORD_1 src1_sel:DWORD
	v_add_f16_e32 v64, v64, v9
	v_add_f16_e32 v51, v51, v58
	v_fma_f16 v12, v12, v102, -v65
	v_mul_f16_sdwa v65, v14, v105 dst_sel:DWORD dst_unused:UNUSED_PAD src0_sel:WORD_1 src1_sel:DWORD
	v_fma_f16 v13, v13, v104, -v61
	v_add_f16_e32 v61, v64, v10
	v_add_f16_e32 v51, v51, v108
	v_lshrrev_b32_e32 v109, 16, v60
	v_mul_f16_sdwa v99, v14, v62 dst_sel:DWORD dst_unused:UNUSED_PAD src0_sel:WORD_1 src1_sel:DWORD
	v_fmac_f16_e32 v65, v14, v62
	v_mul_f16_sdwa v62, v15, v106 dst_sel:DWORD dst_unused:UNUSED_PAD src0_sel:WORD_1 src1_sel:DWORD
	v_add_f16_e32 v61, v61, v11
	v_add_f16_e32 v51, v51, v63
	s_waitcnt lgkmcnt(0)
	v_lshrrev_b32_e32 v111, 16, v103
	v_fma_f16 v14, v14, v105, -v99
	v_mul_f16_sdwa v64, v15, v59 dst_sel:DWORD dst_unused:UNUSED_PAD src0_sel:WORD_1 src1_sel:DWORD
	v_mul_f16_sdwa v99, v35, v109 dst_sel:DWORD dst_unused:UNUSED_PAD src0_sel:WORD_1 src1_sel:DWORD
	v_fmac_f16_e32 v62, v15, v59
	v_add_f16_e32 v59, v61, v12
	v_add_f16_e32 v51, v51, v66
	v_mul_f16_sdwa v61, v36, v103 dst_sel:DWORD dst_unused:UNUSED_PAD src0_sel:WORD_1 src1_sel:DWORD
	v_fma_f16 v15, v15, v106, -v64
	v_fmac_f16_e32 v99, v35, v60
	v_add_f16_e32 v59, v59, v13
	v_add_f16_e32 v51, v51, v65
	v_mul_f16_sdwa v60, v35, v60 dst_sel:DWORD dst_unused:UNUSED_PAD src0_sel:WORD_1 src1_sel:DWORD
	v_mul_f16_sdwa v64, v36, v111 dst_sel:DWORD dst_unused:UNUSED_PAD src0_sel:WORD_1 src1_sel:DWORD
	v_fma_f16 v61, v36, v111, -v61
	v_add_f16_e32 v59, v59, v14
	v_add_f16_e32 v51, v51, v62
	v_fma_f16 v35, v35, v109, -v60
	v_fmac_f16_e32 v64, v36, v103
	v_sub_f16_e32 v36, v8, v61
	v_add_f16_e32 v59, v59, v15
	v_add_f16_e32 v51, v51, v99
	;; [unrolled: 1-line block ×4, first 2 shown]
	v_mul_f16_e32 v101, 0xb853, v36
	v_sub_f16_e32 v119, v9, v35
	v_add_f16_e32 v59, v59, v35
	v_sub_f16_e32 v102, v107, v64
	v_mul_f16_e32 v103, 0x3abb, v60
	v_fmamk_f16 v104, v100, 0x3abb, v101
	v_add_f16_e32 v51, v51, v64
	v_mul_f16_e32 v64, 0xbb47, v36
	v_mul_f16_e32 v106, 0x36a6, v60
	;; [unrolled: 1-line block ×8, first 2 shown]
	v_add_f16_e32 v121, v110, v99
	v_mul_f16_e32 v122, 0xbb47, v119
	v_add_f16_e32 v9, v9, v35
	v_add_f16_e32 v59, v59, v61
	v_fmamk_f16 v61, v102, 0x3853, v103
	v_add_f16_e32 v104, v57, v104
	v_fma_f16 v101, v100, 0x3abb, -v101
	v_fmac_f16_e32 v103, 0xb853, v102
	v_fmamk_f16 v105, v100, 0x36a6, v64
	v_fmamk_f16 v109, v102, 0x3b47, v106
	v_fma_f16 v64, v100, 0x36a6, -v64
	v_fmac_f16_e32 v106, 0xbb47, v102
	v_fmamk_f16 v111, v100, 0xb08e, v107
	v_fmamk_f16 v113, v102, 0x3beb, v112
	;; [unrolled: 4-line block ×4, first 2 shown]
	v_fma_f16 v35, v100, 0xbbad, -v36
	v_fmac_f16_e32 v60, 0xb482, v102
	v_sub_f16_e32 v36, v110, v99
	v_fmamk_f16 v99, v121, 0x36a6, v122
	v_mul_f16_e32 v100, 0x36a6, v9
	v_add_f16_sdwa v61, v57, v61 dst_sel:DWORD dst_unused:UNUSED_PAD src0_sel:WORD_1 src1_sel:DWORD
	v_add_f16_e32 v101, v57, v101
	v_add_f16_sdwa v103, v57, v103 dst_sel:DWORD dst_unused:UNUSED_PAD src0_sel:WORD_1 src1_sel:DWORD
	v_add_f16_e32 v105, v57, v105
	;; [unrolled: 2-line block ×10, first 2 shown]
	v_fmamk_f16 v99, v36, 0x3b47, v100
	v_mul_f16_e32 v104, 0xba0c, v119
	v_fma_f16 v110, v121, 0x36a6, -v122
	v_fmac_f16_e32 v100, 0xbb47, v36
	v_mul_f16_e32 v120, 0xb93d, v9
	v_add_f16_e32 v61, v99, v61
	v_fmamk_f16 v99, v121, 0xb93d, v104
	v_add_f16_e32 v101, v110, v101
	v_add_f16_e32 v100, v100, v103
	v_fmamk_f16 v103, v36, 0x3a0c, v120
	v_mul_f16_e32 v110, 0x3482, v119
	v_add_f16_e32 v99, v99, v105
	v_fma_f16 v104, v121, 0xb93d, -v104
	v_fmac_f16_e32 v120, 0xba0c, v36
	v_add_f16_e32 v103, v103, v109
	v_fmamk_f16 v105, v121, 0xbbad, v110
	v_mul_f16_e32 v109, 0xbbad, v9
	v_add_f16_e32 v64, v104, v64
	v_add_f16_e32 v104, v120, v106
	v_mul_f16_e32 v106, 0x3beb, v119
	v_add_f16_e32 v105, v105, v111
	v_fmamk_f16 v111, v36, 0xb482, v109
	v_fmac_f16_e32 v109, 0x3482, v36
	v_mul_f16_e32 v122, 0xb08e, v9
	v_fmamk_f16 v120, v121, 0xb08e, v106
	v_mul_f16_e32 v9, 0x3abb, v9
	v_fma_f16 v106, v121, 0xb08e, -v106
	v_add_f16_e32 v109, v109, v112
	v_fmamk_f16 v112, v36, 0xbbeb, v122
	v_fmac_f16_e32 v122, 0x3beb, v36
	v_fma_f16 v110, v121, 0xbbad, -v110
	v_add_f16_e32 v111, v111, v113
	v_mul_f16_e32 v113, 0x3853, v119
	v_add_f16_e32 v112, v112, v117
	v_fmamk_f16 v117, v36, 0xb853, v9
	v_add_f16_e32 v106, v106, v114
	v_add_f16_e32 v114, v122, v115
	v_sub_f16_e32 v115, v10, v15
	v_add_f16_e32 v10, v10, v15
	v_add_f16_e32 v107, v110, v107
	v_add_f16_e32 v110, v120, v116
	v_fmamk_f16 v116, v121, 0x3abb, v113
	v_add_f16_e32 v102, v117, v102
	v_add_f16_e32 v117, v58, v62
	v_mul_f16_e32 v15, 0xbbeb, v115
	v_fma_f16 v113, v121, 0x3abb, -v113
	v_fmac_f16_e32 v9, 0x3853, v36
	v_sub_f16_e32 v36, v58, v62
	v_mul_f16_e32 v58, 0xb08e, v10
	v_fmamk_f16 v62, v117, 0xb08e, v15
	v_add_f16_e32 v35, v113, v35
	v_add_f16_e32 v9, v9, v57
	v_mul_f16_e32 v57, 0x3482, v115
	v_fmamk_f16 v113, v36, 0x3beb, v58
	v_add_f16_e32 v60, v62, v60
	v_fma_f16 v15, v117, 0xb08e, -v15
	v_fmac_f16_e32 v58, 0xbbeb, v36
	v_fmamk_f16 v62, v117, 0xbbad, v57
	v_add_f16_e32 v61, v113, v61
	v_mul_f16_e32 v113, 0xbbad, v10
	v_add_f16_e32 v15, v15, v101
	v_add_f16_e32 v58, v58, v100
	;; [unrolled: 1-line block ×3, first 2 shown]
	v_mul_f16_e32 v99, 0x3b47, v115
	v_fmamk_f16 v100, v36, 0xb482, v113
	v_mul_f16_e32 v101, 0x36a6, v10
	v_add_f16_e32 v116, v116, v118
	v_fma_f16 v57, v117, 0xbbad, -v57
	v_fmac_f16_e32 v113, 0x3482, v36
	v_fmamk_f16 v118, v117, 0x36a6, v99
	v_add_f16_e32 v100, v100, v103
	v_fmamk_f16 v103, v36, 0xbb47, v101
	v_add_f16_e32 v57, v57, v64
	v_add_f16_e32 v64, v113, v104
	;; [unrolled: 1-line block ×3, first 2 shown]
	v_mul_f16_e32 v105, 0xb853, v115
	v_fma_f16 v99, v117, 0x36a6, -v99
	v_fmac_f16_e32 v101, 0x3b47, v36
	v_add_f16_e32 v103, v103, v111
	v_mul_f16_e32 v111, 0x3abb, v10
	v_fmamk_f16 v113, v117, 0x3abb, v105
	v_add_f16_e32 v99, v99, v107
	v_add_f16_e32 v101, v101, v109
	v_mul_f16_e32 v107, 0xba0c, v115
	v_fmamk_f16 v109, v36, 0x3853, v111
	v_add_f16_e32 v110, v113, v110
	v_fma_f16 v105, v117, 0x3abb, -v105
	v_fmac_f16_e32 v111, 0xb853, v36
	v_fmamk_f16 v113, v117, 0xb93d, v107
	v_add_f16_e32 v109, v109, v112
	v_mul_f16_e32 v10, 0xb93d, v10
	v_sub_f16_e32 v112, v11, v14
	v_add_f16_e32 v11, v11, v14
	v_add_f16_e32 v105, v105, v106
	;; [unrolled: 1-line block ×4, first 2 shown]
	v_fmamk_f16 v113, v36, 0x3a0c, v10
	v_fma_f16 v107, v117, 0xb93d, -v107
	v_add_f16_e32 v14, v108, v65
	v_mul_f16_e32 v114, 0xba0c, v112
	v_fmac_f16_e32 v10, 0xba0c, v36
	v_sub_f16_e32 v36, v108, v65
	v_mul_f16_e32 v65, 0xb93d, v11
	v_add_f16_e32 v35, v107, v35
	v_fmamk_f16 v108, v14, 0xb93d, v114
	v_add_f16_e32 v9, v10, v9
	v_mul_f16_e32 v107, 0x3beb, v112
	v_fmamk_f16 v10, v36, 0x3a0c, v65
	v_fmac_f16_e32 v65, 0xba0c, v36
	v_add_f16_e32 v102, v113, v102
	v_add_f16_e32 v60, v108, v60
	v_fma_f16 v108, v14, 0xb93d, -v114
	v_add_f16_e32 v10, v10, v61
	v_fmamk_f16 v61, v14, 0xb08e, v107
	v_mul_f16_e32 v113, 0xb08e, v11
	v_add_f16_e32 v58, v65, v58
	v_mul_f16_e32 v65, 0xb853, v112
	v_add_f16_e32 v15, v108, v15
	v_add_f16_e32 v61, v61, v62
	v_fmamk_f16 v62, v36, 0xbbeb, v113
	v_fma_f16 v107, v14, 0xb08e, -v107
	v_fmamk_f16 v108, v14, 0x3abb, v65
	v_mul_f16_e32 v114, 0x3abb, v11
	v_fma_f16 v65, v14, 0x3abb, -v65
	v_add_f16_e32 v62, v62, v100
	v_add_f16_e32 v57, v107, v57
	v_add_f16_e32 v100, v108, v104
	v_fmamk_f16 v104, v36, 0x3853, v114
	v_mul_f16_e32 v107, 0xb482, v112
	v_fmac_f16_e32 v114, 0xb853, v36
	v_mul_f16_e32 v108, 0xbbad, v11
	v_add_f16_e32 v65, v65, v99
	v_add_f16_e32 v103, v104, v103
	v_fmamk_f16 v104, v14, 0xbbad, v107
	v_add_f16_e32 v99, v114, v101
	v_fmamk_f16 v101, v36, 0x3482, v108
	v_mul_f16_e32 v112, 0x3b47, v112
	v_fma_f16 v107, v14, 0xbbad, -v107
	v_fmac_f16_e32 v108, 0xb482, v36
	v_mul_f16_e32 v11, 0x36a6, v11
	v_add_f16_e32 v101, v101, v109
	v_fmamk_f16 v109, v14, 0x36a6, v112
	v_add_f16_e32 v105, v107, v105
	v_sub_f16_e32 v107, v12, v13
	v_add_f16_e32 v12, v12, v13
	v_fmac_f16_e32 v113, 0x3beb, v36
	v_add_f16_e32 v104, v104, v110
	v_add_f16_e32 v106, v108, v106
	;; [unrolled: 1-line block ×3, first 2 shown]
	v_fmamk_f16 v109, v36, 0xbb47, v11
	v_add_f16_e32 v110, v63, v66
	v_mul_f16_e32 v13, 0xb482, v107
	v_fmac_f16_e32 v11, 0x3b47, v36
	v_sub_f16_e32 v36, v63, v66
	v_mul_f16_e32 v63, 0xbbad, v12
	v_fma_f16 v14, v14, 0x36a6, -v112
	v_fmamk_f16 v66, v110, 0xbbad, v13
	v_add_f16_e32 v9, v11, v9
	v_fma_f16 v13, v110, 0xbbad, -v13
	v_fmamk_f16 v11, v36, 0x3482, v63
	v_add_f16_e32 v14, v14, v35
	v_add_f16_e32 v35, v66, v60
	v_mul_f16_e32 v60, 0x3853, v107
	v_fmac_f16_e32 v63, 0xb482, v36
	v_add_f16_e32 v10, v11, v10
	v_mul_f16_e32 v11, 0x3abb, v12
	v_add_f16_e32 v13, v13, v15
	v_fmamk_f16 v66, v110, 0x3abb, v60
	v_add_f16_e32 v15, v63, v58
	v_mul_f16_e32 v58, 0xba0c, v107
	v_fmamk_f16 v63, v36, 0xb853, v11
	v_add_f16_e32 v64, v113, v64
	v_add_f16_e32 v61, v66, v61
	v_fma_f16 v60, v110, 0x3abb, -v60
	v_fmac_f16_e32 v11, 0x3853, v36
	v_fmamk_f16 v66, v110, 0xb93d, v58
	v_add_f16_e32 v62, v63, v62
	v_mul_f16_e32 v63, 0xb93d, v12
	v_add_f16_e32 v57, v60, v57
	v_add_f16_e32 v11, v11, v64
	;; [unrolled: 1-line block ×3, first 2 shown]
	v_mul_f16_e32 v64, 0x3b47, v107
	v_fmamk_f16 v66, v36, 0x3a0c, v63
	v_fma_f16 v58, v110, 0xb93d, -v58
	v_mul_f16_e32 v100, 0x36a6, v12
	v_add_f16_e32 v102, v109, v102
	v_fmac_f16_e32 v63, 0xba0c, v36
	v_fmamk_f16 v109, v110, 0x36a6, v64
	v_add_f16_e32 v66, v66, v103
	v_add_f16_e32 v58, v58, v65
	v_fmamk_f16 v65, v36, 0xbb47, v100
	v_mul_f16_e32 v103, 0xbbeb, v107
	v_mul_f16_e32 v12, 0xb08e, v12
	v_add_f16_e32 v63, v63, v99
	v_add_f16_e32 v99, v109, v104
	;; [unrolled: 1-line block ×3, first 2 shown]
	v_fmamk_f16 v101, v110, 0xb08e, v103
	v_fmamk_f16 v104, v36, 0x3beb, v12
	v_fma_f16 v64, v110, 0x36a6, -v64
	v_fmac_f16_e32 v100, 0x3b47, v36
	v_fma_f16 v103, v110, 0xb08e, -v103
	v_fmac_f16_e32 v12, 0xbbeb, v36
	v_pack_b32_f16 v51, v51, v59
	v_pack_b32_f16 v10, v35, v10
	v_add_f16_e32 v101, v101, v108
	v_add_f16_e32 v36, v104, v102
	;; [unrolled: 1-line block ×6, first 2 shown]
	v_add_nc_u32_e32 v8, 0x134, v78
	s_barrier
	buffer_gl0_inv
	ds_write2_b32 v85, v51, v10 offset1:2
	v_pack_b32_f16 v10, v61, v62
	v_pack_b32_f16 v12, v60, v66
	v_pack_b32_f16 v35, v99, v65
	v_pack_b32_f16 v36, v101, v36
	v_pack_b32_f16 v9, v14, v9
	v_pack_b32_f16 v14, v64, v100
	v_pack_b32_f16 v51, v58, v63
	v_pack_b32_f16 v11, v57, v11
	v_pack_b32_f16 v13, v13, v15
	ds_write2_b32 v85, v10, v12 offset0:4 offset1:6
	ds_write2_b32 v85, v35, v36 offset0:8 offset1:10
	;; [unrolled: 1-line block ×4, first 2 shown]
	ds_write_b32 v85, v13 offset:80
	s_and_saveexec_b32 s0, vcc_lo
	s_cbranch_execz .LBB0_9
; %bb.8:
	v_mul_f16_sdwa v9, v34, v96 dst_sel:DWORD dst_unused:UNUSED_PAD src0_sel:WORD_1 src1_sel:DWORD
	v_mul_f16_sdwa v10, v0, v55 dst_sel:DWORD dst_unused:UNUSED_PAD src0_sel:WORD_1 src1_sel:DWORD
	;; [unrolled: 1-line block ×5, first 2 shown]
	v_fma_f16 v9, v34, v98, -v9
	v_fma_f16 v10, v0, v53, -v10
	v_lshrrev_b32_e32 v14, 16, v56
	v_mul_f16_sdwa v15, v1, v56 dst_sel:DWORD dst_unused:UNUSED_PAD src0_sel:WORD_1 src1_sel:DWORD
	v_fmac_f16_e32 v12, v34, v96
	v_mul_f16_sdwa v34, v33, v97 dst_sel:DWORD dst_unused:UNUSED_PAD src0_sel:WORD_1 src1_sel:DWORD
	v_fmac_f16_e32 v11, v0, v55
	v_add_f16_e32 v35, v9, v10
	v_fma_f16 v13, v33, v97, -v13
	v_fma_f16 v15, v1, v14, -v15
	v_mul_f16_sdwa v14, v1, v14 dst_sel:DWORD dst_unused:UNUSED_PAD src0_sel:WORD_1 src1_sel:DWORD
	v_fmac_f16_e32 v34, v33, v44
	v_mul_f16_sdwa v44, v7, v43 dst_sel:DWORD dst_unused:UNUSED_PAD src0_sel:WORD_1 src1_sel:DWORD
	v_mul_f16_sdwa v55, v2, v52 dst_sel:DWORD dst_unused:UNUSED_PAD src0_sel:WORD_1 src1_sel:DWORD
	v_mul_f16_e32 v36, 0xbbad, v35
	v_sub_f16_e32 v51, v11, v12
	v_add_f16_e32 v53, v13, v15
	v_fmac_f16_e32 v14, v1, v56
	v_fma_f16 v44, v7, v95, -v44
	v_fma_f16 v55, v2, v94, -v55
	v_mul_f16_sdwa v57, v2, v94 dst_sel:DWORD dst_unused:UNUSED_PAD src0_sel:WORD_1 src1_sel:DWORD
	v_mul_f16_sdwa v58, v7, v95 dst_sel:DWORD dst_unused:UNUSED_PAD src0_sel:WORD_1 src1_sel:DWORD
	;; [unrolled: 1-line block ×4, first 2 shown]
	v_fmamk_f16 v1, v51, 0x3482, v36
	v_mul_f16_e32 v33, 0x3abb, v53
	v_sub_f16_e32 v0, v14, v34
	v_add_f16_e32 v61, v44, v55
	v_fmac_f16_e32 v57, v2, v52
	v_fmac_f16_e32 v58, v7, v43
	v_fma_f16 v2, v6, v93, -v59
	v_fma_f16 v7, v3, v92, -v60
	v_mul_f16_sdwa v43, v3, v92 dst_sel:DWORD dst_unused:UNUSED_PAD src0_sel:WORD_1 src1_sel:DWORD
	v_mul_f16_sdwa v52, v6, v93 dst_sel:DWORD dst_unused:UNUSED_PAD src0_sel:WORD_1 src1_sel:DWORD
	v_add_f16_sdwa v1, v54, v1 dst_sel:DWORD dst_unused:UNUSED_PAD src0_sel:WORD_1 src1_sel:DWORD
	v_fmamk_f16 v56, v0, 0xb853, v33
	v_mul_f16_e32 v59, 0xb93d, v61
	v_sub_f16_e32 v60, v57, v58
	v_add_f16_e32 v62, v2, v7
	v_fmac_f16_e32 v43, v3, v37
	v_fmac_f16_e32 v52, v6, v40
	v_add_f16_e32 v1, v56, v1
	v_fmamk_f16 v3, v60, 0x3a0c, v59
	v_mul_f16_e32 v6, 0x36a6, v62
	v_mul_f16_sdwa v40, v5, v39 dst_sel:DWORD dst_unused:UNUSED_PAD src0_sel:WORD_1 src1_sel:DWORD
	v_sub_f16_e32 v37, v43, v52
	v_mul_f16_sdwa v56, v4, v38 dst_sel:DWORD dst_unused:UNUSED_PAD src0_sel:WORD_1 src1_sel:DWORD
	v_add_f16_e32 v1, v3, v1
	v_mul_f16_sdwa v63, v4, v90 dst_sel:DWORD dst_unused:UNUSED_PAD src0_sel:WORD_1 src1_sel:DWORD
	v_mul_f16_sdwa v64, v5, v91 dst_sel:DWORD dst_unused:UNUSED_PAD src0_sel:WORD_1 src1_sel:DWORD
	v_fmamk_f16 v3, v37, 0xbb47, v6
	v_fma_f16 v56, v4, v90, -v56
	v_add_f16_e32 v65, v12, v11
	v_sub_f16_e32 v90, v15, v13
	v_fmac_f16_e32 v63, v4, v38
	v_add_f16_e32 v1, v3, v1
	v_fma_f16 v3, v5, v91, -v40
	v_sub_f16_e32 v40, v10, v9
	v_fmac_f16_e32 v64, v5, v39
	v_add_f16_e32 v5, v34, v14
	v_mul_f16_e32 v38, 0x3853, v90
	v_sub_f16_e32 v91, v55, v44
	v_mul_f16_e32 v66, 0xb482, v40
	v_add_f16_e32 v94, v58, v57
	v_add_f16_e32 v98, v52, v43
	v_fmamk_f16 v93, v5, 0x3abb, v38
	v_mul_f16_e32 v95, 0xba0c, v91
	v_fmamk_f16 v4, v65, 0xbbad, v66
	v_add_f16_e32 v103, v64, v63
	v_mul_f16_e32 v107, 0xba0c, v40
	v_mul_f16_e32 v109, 0x3beb, v90
	v_fmamk_f16 v97, v94, 0xb93d, v95
	v_add_f16_e32 v4, v54, v4
	v_mul_f16_e32 v112, 0xb853, v91
	v_mul_f16_e32 v119, 0xbbeb, v40
	v_fmamk_f16 v111, v5, 0xb08e, v109
	v_mul_f16_e32 v121, 0x3482, v90
	v_add_f16_e32 v4, v93, v4
	v_sub_f16_e32 v93, v7, v2
	v_mul_f16_e32 v124, 0x3b47, v91
	v_add_f16_e32 v11, v54, v11
	v_fmamk_f16 v123, v5, 0xbbad, v121
	v_add_f16_e32 v4, v97, v4
	v_mul_f16_e32 v99, 0x3b47, v93
	v_sub_f16_e32 v97, v56, v3
	v_mul_f16_e32 v114, 0xb482, v93
	v_mul_f16_e32 v126, 0xb853, v93
	v_add_f16_sdwa v10, v10, v54 dst_sel:DWORD dst_unused:UNUSED_PAD src0_sel:DWORD src1_sel:WORD_1
	v_fmamk_f16 v102, v98, 0x36a6, v99
	v_mul_f16_e32 v104, 0xbbeb, v97
	v_mul_f16_e32 v116, 0x3b47, v97
	v_add_f16_e32 v11, v14, v11
	v_add_f16_e32 v10, v15, v10
	;; [unrolled: 1-line block ×3, first 2 shown]
	v_fmamk_f16 v102, v103, 0xb08e, v104
	v_add_f16_e32 v85, v3, v56
	v_add_f16_e32 v11, v57, v11
	;; [unrolled: 1-line block ×3, first 2 shown]
	v_sub_f16_e32 v92, v63, v64
	v_add_f16_e32 v4, v102, v4
	v_fmamk_f16 v102, v65, 0xb93d, v107
	v_mul_f16_e32 v39, 0xb08e, v85
	v_mul_f16_e32 v57, 0xbb47, v90
	v_add_f16_e32 v11, v43, v11
	v_add_f16_e32 v7, v7, v10
	;; [unrolled: 1-line block ×3, first 2 shown]
	v_fmamk_f16 v96, v92, 0x3beb, v39
	v_fmamk_f16 v55, v5, 0x36a6, v57
	v_add_f16_e32 v10, v63, v11
	v_mul_f16_e32 v11, 0xbbeb, v91
	v_add_f16_e32 v102, v111, v102
	v_fmamk_f16 v111, v94, 0x3abb, v112
	v_add_f16_e32 v7, v56, v7
	v_add_f16_e32 v1, v96, v1
	v_mul_f16_e32 v96, 0xb93d, v35
	v_add_f16_e32 v10, v64, v10
	v_add_f16_e32 v102, v111, v102
	v_fmamk_f16 v111, v98, 0xbbad, v114
	v_mul_f16_e32 v56, 0xba0c, v93
	v_add_f16_e32 v3, v3, v7
	v_fmamk_f16 v100, v51, 0x3a0c, v96
	v_mul_f16_e32 v101, 0xb08e, v53
	v_add_f16_e32 v102, v111, v102
	v_fmamk_f16 v111, v103, 0x36a6, v116
	v_add_f16_e32 v7, v52, v10
	v_mul_f16_e32 v52, 0xb482, v97
	v_add_f16_e32 v2, v2, v3
	v_add_f16_sdwa v100, v54, v100 dst_sel:DWORD dst_unused:UNUSED_PAD src0_sel:WORD_1 src1_sel:DWORD
	v_add_f16_e32 v102, v111, v102
	v_fmamk_f16 v111, v65, 0xb08e, v119
	v_fmamk_f16 v105, v0, 0xbbeb, v101
	v_mul_f16_e32 v106, 0x3abb, v61
	v_add_f16_e32 v3, v58, v7
	v_fmac_f16_e32 v36, 0xb482, v51
	v_add_f16_e32 v111, v54, v111
	v_add_f16_e32 v2, v44, v2
	;; [unrolled: 1-line block ×3, first 2 shown]
	v_fmamk_f16 v105, v60, 0x3853, v106
	v_mul_f16_e32 v108, 0xbbad, v62
	v_add_f16_e32 v111, v123, v111
	v_fmamk_f16 v123, v94, 0x36a6, v124
	v_add_f16_e32 v3, v34, v3
	v_fmac_f16_e32 v33, 0x3853, v0
	v_add_f16_e32 v2, v13, v2
	v_add_f16_e32 v100, v105, v100
	;; [unrolled: 1-line block ×3, first 2 shown]
	v_fmamk_f16 v123, v98, 0x3abb, v126
	v_fmamk_f16 v105, v37, 0x3482, v108
	v_mul_f16_e32 v110, 0x36a6, v85
	v_add_f16_e32 v3, v12, v3
	v_fmac_f16_e32 v59, 0xba0c, v60
	v_add_f16_e32 v111, v123, v111
	v_mul_f16_e32 v123, 0xbb47, v40
	v_mul_f16_e32 v40, 0xb853, v40
	v_add_f16_e32 v2, v9, v2
	v_fmac_f16_e32 v96, 0xba0c, v51
	v_add_f16_e32 v100, v105, v100
	v_fmamk_f16 v105, v92, 0xbb47, v110
	v_fmamk_f16 v15, v65, 0x3abb, v40
	v_mul_f16_e32 v113, 0xb08e, v35
	v_fmac_f16_e32 v6, 0x3b47, v37
	v_add_f16_sdwa v13, v54, v96 dst_sel:DWORD dst_unused:UNUSED_PAD src0_sel:WORD_1 src1_sel:DWORD
	v_fmac_f16_e32 v101, 0x3beb, v0
	v_add_f16_e32 v15, v54, v15
	v_add_f16_e32 v100, v105, v100
	v_fmamk_f16 v105, v51, 0x3beb, v113
	v_mul_f16_e32 v115, 0xbbad, v53
	v_mul_f16_e32 v118, 0x36a6, v61
	v_add_f16_e32 v15, v55, v15
	v_fmamk_f16 v55, v94, 0xb08e, v11
	v_add_f16_sdwa v105, v54, v105 dst_sel:DWORD dst_unused:UNUSED_PAD src0_sel:WORD_1 src1_sel:DWORD
	v_fmamk_f16 v117, v0, 0xb482, v115
	v_mul_f16_e32 v120, 0x3abb, v62
	v_mul_f16_e32 v122, 0xb93d, v85
	v_add_f16_e32 v10, v55, v15
	v_fmamk_f16 v15, v98, 0xb93d, v56
	v_add_f16_e32 v105, v117, v105
	v_fmamk_f16 v117, v60, 0xbb47, v118
	v_fma_f16 v34, v5, 0xbbad, -v121
	v_mul_f16_e32 v125, 0x36a6, v35
	v_add_f16_e32 v7, v15, v10
	v_fmamk_f16 v10, v103, 0xbbad, v52
	v_add_f16_sdwa v15, v54, v36 dst_sel:DWORD dst_unused:UNUSED_PAD src0_sel:WORD_1 src1_sel:DWORD
	v_add_f16_e32 v105, v117, v105
	v_fmamk_f16 v117, v37, 0x3853, v120
	v_mul_f16_e32 v128, 0xba0c, v97
	v_add_f16_e32 v7, v10, v7
	v_fma_f16 v10, v65, 0xbbad, -v66
	v_add_f16_e32 v12, v33, v15
	v_fma_f16 v15, v5, 0xb08e, -v109
	v_add_f16_e32 v105, v117, v105
	v_fmamk_f16 v117, v92, 0x3a0c, v122
	v_add_f16_e32 v9, v54, v10
	v_fma_f16 v10, v5, 0x3abb, -v38
	v_add_f16_e32 v12, v59, v12
	v_mul_f16_e32 v127, 0xb93d, v53
	v_add_f16_e32 v105, v117, v105
	v_fmamk_f16 v117, v51, 0x3b47, v125
	v_add_f16_e32 v9, v10, v9
	v_fma_f16 v10, v94, 0xb93d, -v95
	v_add_f16_e32 v6, v6, v12
	v_add_f16_e32 v12, v101, v13
	v_fma_f16 v13, v65, 0xb93d, -v107
	v_fmamk_f16 v131, v103, 0xb93d, v128
	v_add_f16_e32 v9, v10, v9
	v_fma_f16 v10, v98, 0x36a6, -v99
	v_fmamk_f16 v133, v65, 0x36a6, v123
	v_add_f16_e32 v13, v54, v13
	v_mul_f16_e32 v134, 0xba0c, v90
	v_add_f16_sdwa v117, v54, v117 dst_sel:DWORD dst_unused:UNUSED_PAD src0_sel:WORD_1 src1_sel:DWORD
	v_add_f16_e32 v9, v10, v9
	v_fma_f16 v10, v103, 0xb08e, -v104
	v_fmamk_f16 v129, v0, 0x3a0c, v127
	v_mul_f16_e32 v130, 0xbbad, v61
	v_add_f16_e32 v111, v131, v111
	v_add_f16_e32 v131, v54, v133
	;; [unrolled: 1-line block ×4, first 2 shown]
	v_fma_f16 v13, v94, 0x3abb, -v112
	v_fma_f16 v15, v65, 0xb08e, -v119
	v_fmamk_f16 v133, v5, 0xb93d, v134
	v_mul_f16_e32 v135, 0x3482, v91
	v_mul_f16_e32 v35, 0x3abb, v35
	v_add_f16_e32 v10, v13, v10
	v_fma_f16 v13, v98, 0xbbad, -v114
	v_add_f16_e32 v15, v54, v15
	v_add_f16_e32 v117, v129, v117
	v_fmamk_f16 v129, v60, 0xb482, v130
	v_mul_f16_e32 v132, 0xb08e, v62
	v_add_f16_e32 v10, v13, v10
	v_fma_f16 v13, v103, 0x36a6, -v116
	v_add_f16_e32 v15, v34, v15
	v_fma_f16 v34, v94, 0x36a6, -v124
	v_add_f16_e32 v131, v133, v131
	v_fmamk_f16 v133, v94, 0xbbad, v135
	v_add_f16_e32 v10, v13, v10
	v_fmamk_f16 v136, v51, 0x3853, v35
	v_add_f16_e32 v13, v34, v15
	v_fma_f16 v15, v98, 0x3abb, -v126
	v_mul_f16_e32 v53, 0x36a6, v53
	v_fma_f16 v36, v103, 0xb93d, -v128
	v_fma_f16 v38, v5, 0xb93d, -v134
	v_add_f16_e32 v117, v129, v117
	v_add_f16_e32 v13, v15, v13
	v_fma_f16 v15, v65, 0x36a6, -v123
	v_fmamk_f16 v129, v37, 0xbbeb, v132
	v_add_f16_e32 v131, v133, v131
	v_add_f16_sdwa v133, v54, v136 dst_sel:DWORD dst_unused:UNUSED_PAD src0_sel:WORD_1 src1_sel:DWORD
	v_fmamk_f16 v136, v0, 0x3b47, v53
	v_add_f16_e32 v15, v54, v15
	v_mul_f16_e32 v61, 0xb08e, v61
	v_fmac_f16_e32 v35, 0xb853, v51
	v_fmac_f16_e32 v113, 0xbbeb, v51
	v_fmac_f16_e32 v125, 0xbb47, v51
	v_add_f16_e32 v13, v36, v13
	v_add_f16_e32 v15, v38, v15
	v_fma_f16 v36, v94, 0xbbad, -v135
	v_fma_f16 v38, v65, 0x3abb, -v40
	v_add_f16_e32 v117, v129, v117
	v_mul_f16_e32 v129, 0x3abb, v85
	v_add_f16_e32 v133, v136, v133
	v_fmamk_f16 v136, v60, 0x3beb, v61
	v_mul_f16_e32 v62, 0xb93d, v62
	v_add_f16_sdwa v35, v54, v35 dst_sel:DWORD dst_unused:UNUSED_PAD src0_sel:WORD_1 src1_sel:DWORD
	v_fmac_f16_e32 v53, 0xbb47, v0
	v_add_f16_sdwa v33, v54, v113 dst_sel:DWORD dst_unused:UNUSED_PAD src0_sel:WORD_1 src1_sel:DWORD
	v_fmac_f16_e32 v115, 0x3482, v0
	;; [unrolled: 2-line block ×3, first 2 shown]
	v_add_f16_e32 v0, v36, v15
	v_add_f16_e32 v15, v54, v38
	v_fma_f16 v5, v5, 0x36a6, -v57
	v_fmamk_f16 v137, v92, 0xb853, v129
	v_mul_f16_e32 v138, 0x3beb, v93
	v_add_f16_e32 v133, v136, v133
	v_fmamk_f16 v14, v37, 0x3a0c, v62
	v_mul_f16_e32 v43, 0xbbad, v85
	v_add_f16_e32 v35, v53, v35
	v_fmac_f16_e32 v61, 0xbbeb, v60
	v_fmac_f16_e32 v106, 0xb853, v60
	v_add_f16_e32 v33, v115, v33
	v_fmac_f16_e32 v118, 0x3b47, v60
	v_add_f16_e32 v34, v127, v34
	;; [unrolled: 2-line block ×3, first 2 shown]
	v_fma_f16 v11, v94, 0xb08e, -v11
	v_fmamk_f16 v139, v98, 0xb08e, v138
	v_add_f16_e32 v117, v137, v117
	v_mul_f16_e32 v137, 0x3853, v97
	v_add_f16_e32 v14, v14, v133
	v_fmamk_f16 v63, v92, 0x3482, v43
	v_add_f16_e32 v15, v61, v35
	v_mul_u32_u24_e32 v35, 22, v86
	v_add_f16_e32 v12, v106, v12
	v_fmac_f16_e32 v108, 0xb482, v37
	v_add_f16_e32 v33, v118, v33
	v_fmac_f16_e32 v120, 0xb853, v37
	;; [unrolled: 2-line block ×3, first 2 shown]
	v_fma_f16 v36, v98, 0xb08e, -v138
	v_fmac_f16_e32 v62, 0xba0c, v37
	v_add_f16_e32 v5, v11, v5
	v_fma_f16 v11, v98, 0xb93d, -v56
	v_add_f16_e32 v131, v139, v131
	v_fmamk_f16 v139, v103, 0x3abb, v137
	v_add_f16_e32 v14, v63, v14
	v_or_b32_e32 v35, v35, v84
	v_fmac_f16_e32 v39, 0xbbeb, v92
	v_add_f16_e32 v12, v108, v12
	v_fmac_f16_e32 v110, 0x3b47, v92
	v_add_f16_e32 v33, v120, v33
	;; [unrolled: 2-line block ×4, first 2 shown]
	v_fma_f16 v36, v103, 0x3abb, -v137
	v_add_f16_e32 v15, v62, v15
	v_fmac_f16_e32 v43, 0xb482, v92
	v_add_f16_e32 v5, v11, v5
	v_fma_f16 v11, v103, 0xbbad, -v52
	v_add_f16_e32 v131, v139, v131
	v_lshl_add_u32 v35, v35, 2, v83
	v_pack_b32_f16 v2, v3, v2
	v_pack_b32_f16 v3, v7, v14
	v_add_f16_e32 v6, v39, v6
	v_add_f16_e32 v12, v110, v12
	;; [unrolled: 1-line block ×7, first 2 shown]
	ds_write2_b32 v35, v2, v3 offset1:2
	v_pack_b32_f16 v2, v131, v117
	v_pack_b32_f16 v3, v111, v105
	;; [unrolled: 1-line block ×9, first 2 shown]
	ds_write2_b32 v35, v2, v3 offset0:4 offset1:6
	ds_write2_b32 v35, v11, v1 offset0:8 offset1:10
	;; [unrolled: 1-line block ×4, first 2 shown]
	ds_write_b32 v35, v5 offset:80
.LBB0_9:
	s_or_b32 exec_lo, exec_lo, s0
	s_waitcnt lgkmcnt(0)
	s_barrier
	buffer_gl0_inv
	ds_read2_b32 v[5:6], v78 offset0:154 offset1:231
	v_add_nc_u32_e32 v3, 0x400, v78
	v_add_nc_u32_e32 v0, 0x600, v78
	;; [unrolled: 1-line block ×4, first 2 shown]
	ds_read2_b32 v[9:10], v3 offset0:52 offset1:129
	ds_read2_b32 v[11:12], v0 offset0:78 offset1:155
	;; [unrolled: 1-line block ×5, first 2 shown]
	ds_read2_b32 v[37:38], v78 offset1:77
	s_waitcnt lgkmcnt(0)
	s_barrier
	buffer_gl0_inv
	s_mov_b32 s4, 0xdbe74d6b
	s_mov_b32 s5, 0x3f4e65a3
	s_mul_i32 s7, s8, 0xfffff8c8
	v_lshrrev_b32_e32 v1, 16, v5
	v_mul_f16_sdwa v15, v20, v5 dst_sel:DWORD dst_unused:UNUSED_PAD src0_sel:WORD_1 src1_sel:DWORD
	v_lshrrev_b32_e32 v39, 16, v9
	v_lshrrev_b32_e32 v40, 16, v11
	;; [unrolled: 1-line block ×4, first 2 shown]
	v_mul_f16_sdwa v57, v20, v1 dst_sel:DWORD dst_unused:UNUSED_PAD src0_sel:WORD_1 src1_sel:DWORD
	v_mul_f16_sdwa v58, v21, v9 dst_sel:DWORD dst_unused:UNUSED_PAD src0_sel:WORD_1 src1_sel:DWORD
	v_fma_f16 v1, v20, v1, -v15
	v_mul_f16_sdwa v15, v21, v39 dst_sel:DWORD dst_unused:UNUSED_PAD src0_sel:WORD_1 src1_sel:DWORD
	v_lshrrev_b32_e32 v7, 16, v6
	v_lshrrev_b32_e32 v51, 16, v35
	v_mul_f16_sdwa v59, v22, v11 dst_sel:DWORD dst_unused:UNUSED_PAD src0_sel:WORD_1 src1_sel:DWORD
	v_fmac_f16_e32 v57, v20, v5
	v_fma_f16 v5, v21, v39, -v58
	v_mul_f16_sdwa v20, v22, v40 dst_sel:DWORD dst_unused:UNUSED_PAD src0_sel:WORD_1 src1_sel:DWORD
	v_fmac_f16_e32 v15, v21, v9
	v_mul_f16_sdwa v9, v23, v43 dst_sel:DWORD dst_unused:UNUSED_PAD src0_sel:WORD_1 src1_sel:DWORD
	v_mul_f16_sdwa v21, v23, v13 dst_sel:DWORD dst_unused:UNUSED_PAD src0_sel:WORD_1 src1_sel:DWORD
	;; [unrolled: 1-line block ×3, first 2 shown]
	v_lshrrev_b32_e32 v52, 16, v10
	v_lshrrev_b32_e32 v53, 16, v12
	v_fmac_f16_e32 v20, v22, v11
	v_fma_f16 v11, v22, v40, -v59
	v_fmac_f16_e32 v9, v23, v13
	v_fma_f16 v13, v23, v43, -v21
	v_fmac_f16_e32 v39, v45, v33
	v_mul_f16_sdwa v21, v45, v33 dst_sel:DWORD dst_unused:UNUSED_PAD src0_sel:WORD_1 src1_sel:DWORD
	v_mul_f16_sdwa v22, v46, v51 dst_sel:DWORD dst_unused:UNUSED_PAD src0_sel:WORD_1 src1_sel:DWORD
	;; [unrolled: 1-line block ×4, first 2 shown]
	v_lshrrev_b32_e32 v54, 16, v14
	v_lshrrev_b32_e32 v55, 16, v34
	;; [unrolled: 1-line block ×3, first 2 shown]
	v_mul_f16_sdwa v23, v46, v35 dst_sel:DWORD dst_unused:UNUSED_PAD src0_sel:WORD_1 src1_sel:DWORD
	v_fmac_f16_e32 v22, v46, v35
	v_fmac_f16_e32 v33, v16, v6
	v_fma_f16 v6, v16, v7, -v40
	v_mul_f16_sdwa v7, v17, v52 dst_sel:DWORD dst_unused:UNUSED_PAD src0_sel:WORD_1 src1_sel:DWORD
	v_mul_f16_sdwa v16, v17, v10 dst_sel:DWORD dst_unused:UNUSED_PAD src0_sel:WORD_1 src1_sel:DWORD
	;; [unrolled: 1-line block ×4, first 2 shown]
	v_fma_f16 v23, v46, v51, -v23
	v_mul_f16_sdwa v43, v19, v54 dst_sel:DWORD dst_unused:UNUSED_PAD src0_sel:WORD_1 src1_sel:DWORD
	v_fmac_f16_e32 v7, v17, v10
	v_fma_f16 v10, v17, v52, -v16
	v_fmac_f16_e32 v35, v18, v12
	v_fma_f16 v12, v18, v53, -v40
	v_mul_f16_sdwa v16, v41, v55 dst_sel:DWORD dst_unused:UNUSED_PAD src0_sel:WORD_1 src1_sel:DWORD
	v_mul_f16_sdwa v18, v42, v56 dst_sel:DWORD dst_unused:UNUSED_PAD src0_sel:WORD_1 src1_sel:DWORD
	v_fma_f16 v21, v45, v44, -v21
	v_fmac_f16_e32 v43, v19, v14
	v_mul_f16_sdwa v14, v19, v14 dst_sel:DWORD dst_unused:UNUSED_PAD src0_sel:WORD_1 src1_sel:DWORD
	v_mul_f16_sdwa v17, v41, v34 dst_sel:DWORD dst_unused:UNUSED_PAD src0_sel:WORD_1 src1_sel:DWORD
	;; [unrolled: 1-line block ×3, first 2 shown]
	v_fmac_f16_e32 v16, v41, v34
	v_fmac_f16_e32 v18, v42, v36
	v_add_f16_e32 v34, v57, v22
	v_add_f16_e32 v36, v1, v23
	v_sub_f16_e32 v1, v1, v23
	v_add_f16_e32 v23, v15, v39
	v_fma_f16 v14, v19, v54, -v14
	v_fma_f16 v19, v42, v56, -v40
	v_add_f16_e32 v40, v5, v21
	v_sub_f16_e32 v15, v15, v39
	v_sub_f16_e32 v5, v5, v21
	v_add_f16_e32 v21, v20, v9
	v_add_f16_e32 v39, v11, v13
	v_sub_f16_e32 v9, v9, v20
	v_sub_f16_e32 v11, v13, v11
	v_add_f16_e32 v13, v23, v34
	v_fma_f16 v17, v41, v55, -v17
	v_sub_f16_e32 v22, v57, v22
	v_add_f16_e32 v20, v40, v36
	v_sub_f16_e32 v41, v23, v34
	v_sub_f16_e32 v42, v40, v36
	;; [unrolled: 1-line block ×6, first 2 shown]
	v_add_f16_e32 v44, v9, v15
	v_add_f16_e32 v45, v11, v5
	v_sub_f16_e32 v46, v9, v15
	v_sub_f16_e32 v51, v11, v5
	v_add_f16_e32 v13, v21, v13
	v_sub_f16_e32 v5, v5, v1
	v_sub_f16_e32 v9, v22, v9
	;; [unrolled: 1-line block ×4, first 2 shown]
	v_add_f16_e32 v20, v39, v20
	v_add_f16_e32 v21, v44, v22
	;; [unrolled: 1-line block ×4, first 2 shown]
	v_mul_f16_e32 v34, 0x3a52, v34
	v_mul_f16_e32 v36, 0x3a52, v36
	;; [unrolled: 1-line block ×7, first 2 shown]
	v_add_f16_sdwa v37, v37, v20 dst_sel:DWORD dst_unused:UNUSED_PAD src0_sel:WORD_1 src1_sel:DWORD
	v_mul_f16_e32 v51, 0xbb00, v15
	v_fmamk_f16 v13, v13, 0xbcab, v22
	v_fmamk_f16 v23, v23, 0x2b26, v34
	v_fmamk_f16 v40, v40, 0x2b26, v36
	v_fma_f16 v39, v41, 0x39e0, -v39
	v_fma_f16 v44, v42, 0x39e0, -v44
	;; [unrolled: 1-line block ×4, first 2 shown]
	v_fmamk_f16 v42, v11, 0xb574, v46
	v_fma_f16 v5, v5, 0xbb00, -v46
	v_fma_f16 v11, v11, 0x3574, -v52
	v_fmamk_f16 v20, v20, 0xbcab, v37
	v_fmamk_f16 v41, v9, 0xb574, v45
	v_fma_f16 v9, v9, 0x3574, -v51
	v_add_f16_e32 v23, v23, v13
	v_add_f16_e32 v39, v39, v13
	;; [unrolled: 1-line block ×3, first 2 shown]
	v_fmac_f16_e32 v42, 0xb70e, v1
	v_fmac_f16_e32 v11, 0xb70e, v1
	;; [unrolled: 1-line block ×3, first 2 shown]
	v_fma_f16 v15, v15, 0xbb00, -v45
	v_add_f16_e32 v40, v40, v20
	v_add_f16_e32 v44, v44, v20
	;; [unrolled: 1-line block ×3, first 2 shown]
	v_fmac_f16_e32 v41, 0xb70e, v21
	v_fmac_f16_e32 v9, 0xb70e, v21
	v_add_f16_e32 v1, v42, v23
	v_add_f16_e32 v34, v11, v13
	v_sub_f16_e32 v45, v39, v5
	v_add_f16_e32 v5, v5, v39
	v_sub_f16_e32 v11, v13, v11
	v_sub_f16_e32 v13, v23, v42
	v_add_f16_e32 v23, v33, v18
	v_add_f16_e32 v39, v6, v19
	v_sub_f16_e32 v18, v33, v18
	v_sub_f16_e32 v6, v6, v19
	v_add_f16_e32 v19, v7, v16
	v_add_f16_e32 v33, v10, v17
	v_fmac_f16_e32 v15, 0xb70e, v21
	v_sub_f16_e32 v21, v40, v41
	v_sub_f16_e32 v36, v20, v9
	v_add_f16_e32 v9, v9, v20
	v_add_f16_e32 v20, v41, v40
	v_sub_f16_e32 v7, v7, v16
	v_sub_f16_e32 v10, v10, v17
	v_add_f16_e32 v16, v35, v43
	v_add_f16_e32 v17, v12, v14
	;; [unrolled: 4-line block ×3, first 2 shown]
	v_add_f16_e32 v46, v15, v44
	v_sub_f16_e32 v15, v44, v15
	v_sub_f16_e32 v41, v19, v23
	;; [unrolled: 1-line block ×7, first 2 shown]
	v_add_f16_e32 v43, v35, v7
	v_add_f16_e32 v44, v12, v10
	v_sub_f16_e32 v51, v35, v7
	v_sub_f16_e32 v52, v12, v10
	;; [unrolled: 1-line block ×3, first 2 shown]
	v_add_f16_e32 v14, v16, v14
	v_add_f16_e32 v16, v17, v40
	v_sub_f16_e32 v10, v10, v6
	v_sub_f16_e32 v35, v18, v35
	;; [unrolled: 1-line block ×3, first 2 shown]
	v_add_f16_e32 v17, v43, v18
	v_add_f16_e32 v6, v44, v6
	;; [unrolled: 1-line block ×3, first 2 shown]
	v_add_f16_sdwa v38, v38, v16 dst_sel:DWORD dst_unused:UNUSED_PAD src0_sel:WORD_1 src1_sel:DWORD
	v_mul_f16_e32 v23, 0x3a52, v23
	v_mul_f16_e32 v39, 0x3a52, v39
	;; [unrolled: 1-line block ×8, first 2 shown]
	v_fmamk_f16 v14, v14, 0xbcab, v18
	v_fmamk_f16 v16, v16, 0xbcab, v38
	;; [unrolled: 1-line block ×4, first 2 shown]
	v_fma_f16 v40, v41, 0x39e0, -v40
	v_fma_f16 v43, v42, 0x39e0, -v43
	;; [unrolled: 1-line block ×4, first 2 shown]
	v_fmamk_f16 v41, v35, 0xb574, v44
	v_fmamk_f16 v42, v12, 0xb574, v51
	v_fma_f16 v35, v35, 0x3574, -v52
	v_fma_f16 v12, v12, 0x3574, -v53
	;; [unrolled: 1-line block ×4, first 2 shown]
	v_add_f16_e32 v19, v19, v14
	v_add_f16_e32 v33, v33, v16
	v_add_f16_e32 v40, v40, v14
	v_add_f16_e32 v43, v43, v16
	v_add_f16_e32 v14, v23, v14
	v_add_f16_e32 v16, v39, v16
	v_fmac_f16_e32 v41, 0xb70e, v17
	v_fmac_f16_e32 v42, 0xb70e, v6
	;; [unrolled: 1-line block ×6, first 2 shown]
	v_pack_b32_f16 v22, v22, v37
	v_pack_b32_f16 v1, v1, v21
	v_add_f16_e32 v6, v42, v19
	v_sub_f16_e32 v17, v33, v41
	v_add_f16_e32 v23, v12, v14
	v_sub_f16_e32 v39, v16, v35
	v_sub_f16_e32 v12, v14, v12
	v_add_f16_e32 v14, v35, v16
	v_sub_f16_e32 v16, v19, v42
	v_add_f16_e32 v19, v41, v33
	v_pack_b32_f16 v21, v34, v36
	v_pack_b32_f16 v33, v45, v46
	v_sub_f16_e32 v44, v40, v10
	v_add_f16_e32 v51, v7, v43
	v_pack_b32_f16 v5, v5, v15
	v_pack_b32_f16 v9, v11, v9
	v_add_f16_e32 v10, v10, v40
	v_sub_f16_e32 v7, v43, v7
	ds_write2_b32 v88, v22, v1 offset1:22
	ds_write2_b32 v88, v21, v33 offset0:44 offset1:66
	ds_write2_b32 v88, v5, v9 offset0:88 offset1:110
	v_pack_b32_f16 v1, v13, v20
	v_pack_b32_f16 v5, v18, v38
	;; [unrolled: 1-line block ×8, first 2 shown]
	ds_write_b32 v88, v1 offset:528
	ds_write2_b32 v87, v5, v6 offset1:22
	ds_write2_b32 v87, v9, v11 offset0:44 offset1:66
	ds_write2_b32 v87, v7, v10 offset0:88 offset1:110
	ds_write_b32 v87, v12 offset:528
	s_waitcnt lgkmcnt(0)
	s_barrier
	buffer_gl0_inv
	ds_read2_b32 v[5:6], v78 offset0:154 offset1:231
	ds_read2_b32 v[9:10], v3 offset0:52 offset1:129
	ds_read2_b32 v[11:12], v0 offset0:78 offset1:155
	ds_read2_b32 v[13:14], v4 offset0:104 offset1:181
	ds_read2_b32 v[15:16], v2 offset0:2 offset1:79
	ds_read2_b32 v[17:18], v2 offset0:156 offset1:233
	ds_read2_b32 v[19:20], v78 offset1:77
	s_waitcnt lgkmcnt(6)
	v_lshrrev_b32_e32 v1, 16, v5
	s_waitcnt lgkmcnt(5)
	v_lshrrev_b32_e32 v7, 16, v9
	;; [unrolled: 2-line block ×5, first 2 shown]
	v_mul_f16_sdwa v39, v28, v1 dst_sel:DWORD dst_unused:UNUSED_PAD src0_sel:WORD_1 src1_sel:DWORD
	v_mul_f16_sdwa v40, v28, v5 dst_sel:DWORD dst_unused:UNUSED_PAD src0_sel:WORD_1 src1_sel:DWORD
	;; [unrolled: 1-line block ×4, first 2 shown]
	s_waitcnt lgkmcnt(1)
	v_lshrrev_b32_e32 v33, 16, v17
	v_lshrrev_b32_e32 v34, 16, v6
	v_fmac_f16_e32 v39, v28, v5
	v_fma_f16 v1, v28, v1, -v40
	v_fmac_f16_e32 v41, v29, v9
	v_fma_f16 v5, v29, v7, -v42
	v_mul_f16_sdwa v7, v30, v21 dst_sel:DWORD dst_unused:UNUSED_PAD src0_sel:WORD_1 src1_sel:DWORD
	v_mul_f16_sdwa v9, v30, v11 dst_sel:DWORD dst_unused:UNUSED_PAD src0_sel:WORD_1 src1_sel:DWORD
	;; [unrolled: 1-line block ×5, first 2 shown]
	v_lshrrev_b32_e32 v35, 16, v10
	v_lshrrev_b32_e32 v36, 16, v12
	;; [unrolled: 1-line block ×3, first 2 shown]
	v_fmac_f16_e32 v7, v30, v11
	v_fma_f16 v9, v30, v21, -v9
	v_fmac_f16_e32 v28, v31, v13
	v_fma_f16 v11, v31, v22, -v29
	v_fmac_f16_e32 v40, v49, v15
	v_mul_f16_sdwa v13, v49, v15 dst_sel:DWORD dst_unused:UNUSED_PAD src0_sel:WORD_1 src1_sel:DWORD
	v_mul_f16_sdwa v15, v50, v33 dst_sel:DWORD dst_unused:UNUSED_PAD src0_sel:WORD_1 src1_sel:DWORD
	;; [unrolled: 1-line block ×5, first 2 shown]
	v_lshrrev_b32_e32 v38, 16, v16
	v_lshrrev_b32_e32 v43, 16, v18
	v_fma_f16 v13, v49, v23, -v13
	v_fmac_f16_e32 v15, v50, v17
	v_fma_f16 v17, v50, v33, -v21
	v_fmac_f16_e32 v22, v24, v6
	v_fma_f16 v6, v24, v34, -v29
	v_mul_f16_sdwa v21, v25, v35 dst_sel:DWORD dst_unused:UNUSED_PAD src0_sel:WORD_1 src1_sel:DWORD
	v_mul_f16_sdwa v23, v25, v10 dst_sel:DWORD dst_unused:UNUSED_PAD src0_sel:WORD_1 src1_sel:DWORD
	;; [unrolled: 1-line block ×5, first 2 shown]
	v_fmac_f16_e32 v21, v25, v10
	v_fma_f16 v10, v25, v35, -v23
	v_fmac_f16_e32 v24, v26, v12
	v_fma_f16 v12, v26, v36, -v29
	v_fmac_f16_e32 v30, v27, v14
	v_mul_f16_sdwa v14, v27, v14 dst_sel:DWORD dst_unused:UNUSED_PAD src0_sel:WORD_1 src1_sel:DWORD
	v_mul_f16_sdwa v23, v47, v38 dst_sel:DWORD dst_unused:UNUSED_PAD src0_sel:WORD_1 src1_sel:DWORD
	;; [unrolled: 1-line block ×5, first 2 shown]
	v_fma_f16 v14, v27, v37, -v14
	v_fmac_f16_e32 v23, v47, v16
	v_fma_f16 v16, v47, v38, -v25
	v_fmac_f16_e32 v26, v48, v18
	v_fma_f16 v18, v48, v43, -v29
	v_add_f16_e32 v25, v39, v15
	v_add_f16_e32 v27, v1, v17
	v_sub_f16_e32 v1, v1, v17
	v_add_f16_e32 v17, v41, v40
	v_add_f16_e32 v29, v5, v13
	v_sub_f16_e32 v15, v39, v15
	v_sub_f16_e32 v31, v41, v40
	;; [unrolled: 1-line block ×3, first 2 shown]
	v_add_f16_e32 v13, v7, v28
	v_add_f16_e32 v33, v9, v11
	v_sub_f16_e32 v7, v28, v7
	v_sub_f16_e32 v9, v11, v9
	v_add_f16_e32 v11, v17, v25
	v_add_f16_e32 v28, v29, v27
	v_sub_f16_e32 v34, v17, v25
	v_sub_f16_e32 v35, v29, v27
	;; [unrolled: 1-line block ×6, first 2 shown]
	v_add_f16_e32 v36, v7, v31
	v_add_f16_e32 v37, v9, v5
	v_sub_f16_e32 v38, v7, v31
	v_sub_f16_e32 v39, v9, v5
	;; [unrolled: 1-line block ×3, first 2 shown]
	v_add_f16_e32 v11, v13, v11
	v_add_f16_e32 v13, v33, v28
	v_sub_f16_e32 v5, v5, v1
	v_sub_f16_e32 v7, v15, v7
	;; [unrolled: 1-line block ×3, first 2 shown]
	v_add_f16_e32 v15, v36, v15
	v_add_f16_e32 v1, v37, v1
	s_waitcnt lgkmcnt(0)
	v_add_f16_e32 v28, v19, v11
	v_add_f16_sdwa v19, v19, v13 dst_sel:DWORD dst_unused:UNUSED_PAD src0_sel:WORD_1 src1_sel:DWORD
	v_mul_f16_e32 v25, 0x3a52, v25
	v_mul_f16_e32 v27, 0x3a52, v27
	;; [unrolled: 1-line block ×8, first 2 shown]
	v_fmamk_f16 v11, v11, 0xbcab, v28
	v_fmamk_f16 v13, v13, 0xbcab, v19
	;; [unrolled: 1-line block ×4, first 2 shown]
	v_fma_f16 v33, v34, 0x39e0, -v33
	v_fma_f16 v36, v35, 0x39e0, -v36
	;; [unrolled: 1-line block ×4, first 2 shown]
	v_fmamk_f16 v34, v7, 0xb574, v37
	v_fmamk_f16 v35, v9, 0xb574, v38
	v_fma_f16 v7, v7, 0x3574, -v39
	v_fma_f16 v9, v9, 0x3574, -v40
	;; [unrolled: 1-line block ×4, first 2 shown]
	v_add_f16_e32 v17, v17, v11
	v_add_f16_e32 v29, v29, v13
	;; [unrolled: 1-line block ×6, first 2 shown]
	v_fmac_f16_e32 v34, 0xb70e, v15
	v_fmac_f16_e32 v35, 0xb70e, v1
	;; [unrolled: 1-line block ×6, first 2 shown]
	v_add_f16_e32 v1, v35, v17
	v_sub_f16_e32 v15, v29, v34
	v_add_f16_e32 v25, v9, v11
	v_sub_f16_e32 v27, v13, v7
	v_sub_f16_e32 v9, v11, v9
	v_add_f16_e32 v7, v7, v13
	v_sub_f16_e32 v11, v17, v35
	v_add_f16_e32 v13, v34, v29
	v_add_f16_e32 v17, v22, v26
	v_add_f16_e32 v29, v6, v18
	v_sub_f16_e32 v22, v22, v26
	v_sub_f16_e32 v6, v6, v18
	v_add_f16_e32 v18, v21, v23
	v_add_f16_e32 v26, v10, v16
	v_sub_f16_e32 v21, v21, v23
	v_sub_f16_e32 v10, v10, v16
	v_add_f16_e32 v16, v24, v30
	v_add_f16_e32 v23, v12, v14
	;; [unrolled: 4-line block ×3, first 2 shown]
	v_sub_f16_e32 v37, v33, v5
	v_add_f16_e32 v38, v31, v36
	v_add_f16_e32 v5, v5, v33
	v_sub_f16_e32 v31, v36, v31
	v_sub_f16_e32 v33, v18, v17
	;; [unrolled: 1-line block ×7, first 2 shown]
	v_add_f16_e32 v35, v24, v21
	v_add_f16_e32 v36, v12, v10
	v_sub_f16_e32 v39, v24, v21
	v_sub_f16_e32 v40, v12, v10
	;; [unrolled: 1-line block ×3, first 2 shown]
	v_add_f16_e32 v14, v16, v14
	v_add_f16_e32 v16, v23, v30
	v_sub_f16_e32 v10, v10, v6
	v_sub_f16_e32 v24, v22, v24
	;; [unrolled: 1-line block ×3, first 2 shown]
	v_add_f16_e32 v22, v35, v22
	v_add_f16_e32 v6, v36, v6
	;; [unrolled: 1-line block ×3, first 2 shown]
	v_add_f16_sdwa v20, v20, v16 dst_sel:DWORD dst_unused:UNUSED_PAD src0_sel:WORD_1 src1_sel:DWORD
	v_mul_f16_e32 v17, 0x3a52, v17
	v_mul_f16_e32 v29, 0x3a52, v29
	;; [unrolled: 1-line block ×8, first 2 shown]
	v_fmamk_f16 v14, v14, 0xbcab, v23
	v_fmamk_f16 v16, v16, 0xbcab, v20
	;; [unrolled: 1-line block ×4, first 2 shown]
	v_fma_f16 v30, v33, 0x39e0, -v30
	v_fma_f16 v35, v34, 0x39e0, -v35
	;; [unrolled: 1-line block ×4, first 2 shown]
	v_fmamk_f16 v33, v24, 0xb574, v36
	v_fmamk_f16 v34, v12, 0xb574, v39
	v_fma_f16 v24, v24, 0x3574, -v40
	v_fma_f16 v12, v12, 0x3574, -v41
	;; [unrolled: 1-line block ×4, first 2 shown]
	v_add_f16_e32 v18, v18, v14
	v_add_f16_e32 v26, v26, v16
	;; [unrolled: 1-line block ×6, first 2 shown]
	v_fmac_f16_e32 v34, 0xb70e, v6
	v_fmac_f16_e32 v12, 0xb70e, v6
	;; [unrolled: 1-line block ×6, first 2 shown]
	v_add_f16_e32 v6, v34, v18
	v_add_f16_e32 v22, v12, v14
	v_sub_f16_e32 v29, v16, v24
	v_sub_f16_e32 v12, v14, v12
	v_add_f16_e32 v14, v24, v16
	v_sub_f16_e32 v16, v18, v34
	v_pack_b32_f16 v18, v28, v19
	v_pack_b32_f16 v1, v1, v15
	;; [unrolled: 1-line block ×3, first 2 shown]
	v_add_nc_u32_e32 v19, 0x200, v78
	v_sub_f16_e32 v17, v26, v33
	v_pack_b32_f16 v24, v37, v38
	v_sub_f16_e32 v36, v30, v10
	v_add_f16_e32 v39, v21, v35
	v_add_f16_e32 v10, v10, v30
	v_sub_f16_e32 v21, v35, v21
	v_pack_b32_f16 v5, v5, v31
	v_pack_b32_f16 v7, v9, v7
	v_add_nc_u32_e32 v9, 0x900, v89
	v_add_f16_e32 v25, v33, v26
	ds_write_b32 v78, v18
	ds_write2_b32 v19, v1, v15 offset0:26 offset1:180
	ds_write_b32 v78, v24 offset:1848
	ds_write2_b32 v9, v5, v7 offset0:40 offset1:194
	v_pack_b32_f16 v1, v11, v13
	v_pack_b32_f16 v5, v23, v20
	;; [unrolled: 1-line block ×4, first 2 shown]
	v_add_nc_u32_e32 v9, 0x200, v8
	v_pack_b32_f16 v11, v36, v39
	v_pack_b32_f16 v10, v10, v21
	v_add_nc_u32_e32 v13, 0x600, v8
	v_pack_b32_f16 v12, v12, v14
	v_pack_b32_f16 v14, v16, v25
	v_add_nc_u32_e32 v8, 0xc00, v8
	ds_write_b32 v89, v1 offset:3696
	ds_write_b32 v78, v5 offset:308
	ds_write2_b32 v9, v6, v7 offset0:26 offset1:180
	ds_write2_b32 v13, v11, v10 offset0:78 offset1:232
	;; [unrolled: 1-line block ×3, first 2 shown]
	s_waitcnt lgkmcnt(0)
	s_barrier
	buffer_gl0_inv
	ds_read2_b32 v[5:6], v78 offset1:77
	s_waitcnt lgkmcnt(0)
	v_lshrrev_b32_e32 v1, 16, v5
	v_mul_f16_sdwa v7, v82, v1 dst_sel:DWORD dst_unused:UNUSED_PAD src0_sel:WORD_1 src1_sel:DWORD
	v_fmac_f16_e32 v7, v82, v5
	v_mul_f16_sdwa v5, v82, v5 dst_sel:DWORD dst_unused:UNUSED_PAD src0_sel:WORD_1 src1_sel:DWORD
	v_cvt_f32_f16_e32 v7, v7
	v_fma_f16 v1, v82, v1, -v5
	v_cvt_f64_f32_e32 v[7:8], v7
	v_cvt_f32_f16_e32 v1, v1
	v_cvt_f64_f32_e32 v[9:10], v1
	ds_read2_b32 v[0:1], v0 offset0:78 offset1:155
	v_mul_f64 v[7:8], v[7:8], s[4:5]
	s_waitcnt lgkmcnt(0)
	v_lshrrev_b32_e32 v15, 16, v1
	v_mul_f64 v[9:10], v[9:10], s[4:5]
	v_mul_f16_sdwa v16, v81, v15 dst_sel:DWORD dst_unused:UNUSED_PAD src0_sel:WORD_1 src1_sel:DWORD
	v_fmac_f16_e32 v16, v81, v1
	v_mul_f16_sdwa v1, v81, v1 dst_sel:DWORD dst_unused:UNUSED_PAD src0_sel:WORD_1 src1_sel:DWORD
	v_fma_f16 v1, v81, v15, -v1
	v_and_or_b32 v5, 0x1ff, v8, v7
	v_lshrrev_b32_e32 v7, 8, v8
	v_bfe_u32 v11, v8, 20, 11
	v_cvt_f32_f16_e32 v1, v1
	v_cmp_ne_u32_e32 vcc_lo, 0, v5
	v_and_or_b32 v9, 0x1ff, v10, v9
	v_lshrrev_b32_e32 v14, 8, v10
	v_bfe_u32 v17, v10, 20, 11
	v_add_nc_u32_e32 v18, 0xfffffc10, v11
	v_cndmask_b32_e64 v5, 0, 1, vcc_lo
	v_cmp_ne_u32_e32 vcc_lo, 0, v9
	v_cmp_eq_u32_e64 s1, 0x40f, v18
	v_and_or_b32 v7, 0xffe, v7, v5
	v_sub_nc_u32_e32 v5, 0x3f1, v11
	v_cndmask_b32_e64 v9, 0, 1, vcc_lo
	v_cvt_f32_f16_e32 v11, v16
	v_or_b32_e32 v12, 0x1000, v7
	v_med3_i32 v5, v5, 0, 13
	v_and_or_b32 v9, 0xffe, v14, v9
	v_sub_nc_u32_e32 v14, 0x3f1, v17
	v_lshl_or_b32 v20, v18, 12, v7
	v_lshrrev_b32_e32 v13, v5, v12
	v_or_b32_e32 v16, 0x1000, v9
	v_med3_i32 v19, v14, 0, 13
	v_lshlrev_b32_e32 v5, v5, v13
	v_lshrrev_b32_e32 v21, v19, v16
	v_cmp_ne_u32_e32 vcc_lo, v5, v12
	v_cvt_f64_f32_e32 v[11:12], v11
	v_lshlrev_b32_e32 v19, v19, v21
	v_cndmask_b32_e64 v5, 0, 1, vcc_lo
	v_cmp_gt_i32_e32 vcc_lo, 1, v18
	v_or_b32_e32 v5, v13, v5
	v_mad_u64_u32 v[13:14], null, s10, v32, 0
	v_cndmask_b32_e32 v20, v20, v5, vcc_lo
	v_cmp_ne_u32_e32 vcc_lo, v19, v16
	v_add_nc_u32_e32 v19, 0xfffffc10, v17
	v_mov_b32_e32 v5, v14
	v_and_b32_e32 v22, 7, v20
	v_cndmask_b32_e64 v14, 0, 1, vcc_lo
	v_lshrrev_b32_e32 v16, 2, v20
	v_mul_f64 v[11:12], v[11:12], s[4:5]
	v_lshl_or_b32 v17, v19, 12, v9
	v_cmp_lt_i32_e32 vcc_lo, 5, v22
	v_cmp_eq_u32_e64 s0, 3, v22
	v_or_b32_e32 v14, v21, v14
	s_or_b32 vcc_lo, s0, vcc_lo
	v_add_co_ci_u32_e32 v16, vcc_lo, 0, v16, vcc_lo
	v_cmp_gt_i32_e32 vcc_lo, 1, v19
	v_cndmask_b32_e32 v20, v17, v14, vcc_lo
	v_cmp_ne_u32_e32 vcc_lo, 0, v7
	v_cvt_f64_f32_e32 v[14:15], v1
	v_and_b32_e32 v22, 7, v20
	v_cndmask_b32_e64 v7, 0, 1, vcc_lo
	v_cmp_gt_i32_e32 vcc_lo, 31, v18
	v_cmp_eq_u32_e64 s0, 3, v22
	v_lshl_or_b32 v7, v7, 9, 0x7c00
	v_cndmask_b32_e32 v21, 0x7c00, v16, vcc_lo
	v_cmp_lt_i32_e32 vcc_lo, 5, v22
	v_mad_u64_u32 v[16:17], null, s11, v32, v[5:6]
	v_lshrrev_b32_e32 v5, 2, v20
	v_cndmask_b32_e64 v1, v21, v7, s1
	v_and_or_b32 v7, 0x1ff, v12, v11
	s_or_b32 vcc_lo, s0, vcc_lo
	v_lshrrev_b32_e32 v11, 16, v8
	v_add_co_ci_u32_e32 v5, vcc_lo, 0, v5, vcc_lo
	v_cmp_ne_u32_e32 vcc_lo, 0, v7
	v_lshrrev_b32_e32 v8, 8, v12
	v_bfe_u32 v20, v12, 20, 11
	v_mad_u64_u32 v[17:18], null, s8, v79, 0
	v_cndmask_b32_e64 v7, 0, 1, vcc_lo
	v_cmp_ne_u32_e32 vcc_lo, 0, v9
	v_and_or_b32 v11, 0x8000, v11, v1
	v_and_or_b32 v21, 0xffe, v8, v7
	v_mul_f64 v[7:8], v[14:15], s[4:5]
	v_sub_nc_u32_e32 v14, 0x3f1, v20
	v_cndmask_b32_e64 v9, 0, 1, vcc_lo
	v_cmp_gt_i32_e32 vcc_lo, 31, v19
	v_or_b32_e32 v15, 0x1000, v21
	v_mov_b32_e32 v1, v18
	v_med3_i32 v22, v14, 0, 13
	v_lshl_or_b32 v9, v9, 9, 0x7c00
	v_cndmask_b32_e32 v5, 0x7c00, v5, vcc_lo
	v_cmp_eq_u32_e32 vcc_lo, 0x40f, v19
	v_mov_b32_e32 v14, v16
	v_lshrrev_b32_e32 v16, v22, v15
	v_lshrrev_b32_e32 v19, 16, v6
	v_cndmask_b32_e32 v5, v5, v9, vcc_lo
	v_lshrrev_b32_e32 v9, 16, v10
	v_lshlrev_b32_e32 v18, v22, v16
	v_lshlrev_b64 v[13:14], 2, v[13:14]
	v_and_or_b32 v5, 0x8000, v9, v5
	v_mad_u64_u32 v[9:10], null, s9, v79, v[1:2]
	v_and_or_b32 v7, 0x1ff, v8, v7
	v_mul_f16_sdwa v10, v80, v19 dst_sel:DWORD dst_unused:UNUSED_PAD src0_sel:WORD_1 src1_sel:DWORD
	v_cmp_ne_u32_e32 vcc_lo, v18, v15
	v_and_b32_e32 v1, 0xffff, v11
	v_add_nc_u32_e32 v15, 0xfffffc10, v20
	v_lshrrev_b32_e32 v18, 8, v8
	v_fmac_f16_e32 v10, v80, v6
	v_cndmask_b32_e64 v11, 0, 1, vcc_lo
	v_cmp_ne_u32_e32 vcc_lo, 0, v7
	v_bfe_u32 v20, v8, 20, 11
	v_mul_f16_sdwa v6, v80, v6 dst_sel:DWORD dst_unused:UNUSED_PAD src0_sel:WORD_1 src1_sel:DWORD
	v_cvt_f32_f16_e32 v10, v10
	v_or_b32_e32 v11, v16, v11
	v_cndmask_b32_e64 v7, 0, 1, vcc_lo
	v_lshl_or_b32 v16, v15, 12, v21
	v_cmp_gt_i32_e32 vcc_lo, 1, v15
	v_lshl_or_b32 v1, v5, 16, v1
	v_fma_f16 v6, v80, v19, -v6
	v_and_or_b32 v7, 0xffe, v18, v7
	v_sub_nc_u32_e32 v18, 0x3f1, v20
	v_cndmask_b32_e32 v16, v16, v11, vcc_lo
	v_cvt_f64_f32_e32 v[10:11], v10
	v_add_co_u32 v25, vcc_lo, s2, v13
	v_or_b32_e32 v22, 0x1000, v7
	v_med3_i32 v23, v18, 0, 13
	v_and_b32_e32 v5, 7, v16
	v_add_co_ci_u32_e32 v26, vcc_lo, s3, v14, vcc_lo
	v_mov_b32_e32 v18, v9
	v_lshrrev_b32_e32 v24, v23, v22
	v_cmp_lt_i32_e32 vcc_lo, 5, v5
	v_cmp_eq_u32_e64 s0, 3, v5
	v_lshrrev_b32_e32 v13, 2, v16
	v_cvt_f32_f16_e32 v14, v6
	v_lshlrev_b32_e32 v9, v23, v24
	v_add_nc_u32_e32 v19, 0xfffffc10, v20
	s_or_b32 vcc_lo, s0, vcc_lo
	v_lshrrev_b32_e32 v8, 16, v8
	s_mul_hi_u32 s2, s8, 0x86c
	v_cmp_ne_u32_e64 s1, v9, v22
	s_mul_i32 s3, s8, 0x86c
	v_mul_f64 v[5:6], v[10:11], s[4:5]
	v_cvt_f64_f32_e32 v[9:10], v14
	v_add_co_ci_u32_e32 v11, vcc_lo, 0, v13, vcc_lo
	v_cmp_ne_u32_e32 vcc_lo, 0, v21
	v_cndmask_b32_e64 v16, 0, 1, s1
	v_cndmask_b32_e64 v13, 0, 1, vcc_lo
	v_cmp_gt_i32_e32 vcc_lo, 31, v15
	v_or_b32_e32 v14, v24, v16
	v_lshl_or_b32 v16, v19, 12, v7
	v_lshl_or_b32 v20, v13, 9, 0x7c00
	v_cndmask_b32_e32 v11, 0x7c00, v11, vcc_lo
	v_cmp_gt_i32_e32 vcc_lo, 1, v19
	v_cndmask_b32_e32 v16, v16, v14, vcc_lo
	v_lshlrev_b64 v[13:14], 2, v[17:18]
	v_cmp_eq_u32_e32 vcc_lo, 0x40f, v15
	v_mul_f64 v[9:10], v[9:10], s[4:5]
	v_lshrrev_b32_e32 v17, 16, v12
	v_and_b32_e32 v18, 7, v16
	v_cndmask_b32_e32 v15, v11, v20, vcc_lo
	v_add_co_u32 v11, vcc_lo, v25, v13
	v_add_co_ci_u32_e32 v12, vcc_lo, v26, v14, vcc_lo
	v_and_or_b32 v14, 0x1ff, v6, v5
	v_cmp_lt_i32_e32 vcc_lo, 5, v18
	v_cmp_eq_u32_e64 s0, 3, v18
	v_and_or_b32 v13, 0x8000, v17, v15
	ds_read2_b32 v[4:5], v4 offset0:104 offset1:181
	v_lshrrev_b32_e32 v15, 2, v16
	v_cmp_ne_u32_e64 s1, 0, v14
	s_or_b32 vcc_lo, s0, vcc_lo
	v_lshrrev_b32_e32 v16, 8, v6
	v_bfe_u32 v17, v6, 20, 11
	v_add_co_ci_u32_e32 v15, vcc_lo, 0, v15, vcc_lo
	v_cndmask_b32_e64 v14, 0, 1, s1
	v_cmp_ne_u32_e32 vcc_lo, 0, v7
	v_and_or_b32 v9, 0x1ff, v10, v9
	v_lshrrev_b32_e32 v21, 8, v10
	v_bfe_u32 v22, v10, 20, 11
	v_and_or_b32 v16, 0xffe, v16, v14
	v_cndmask_b32_e64 v7, 0, 1, vcc_lo
	v_sub_nc_u32_e32 v14, 0x3f1, v17
	v_cmp_gt_i32_e32 vcc_lo, 31, v19
	v_add_nc_u32_e32 v17, 0xfffffc10, v17
	v_or_b32_e32 v18, 0x1000, v16
	v_lshl_or_b32 v7, v7, 9, 0x7c00
	v_med3_i32 v14, v14, 0, 13
	v_cndmask_b32_e32 v15, 0x7c00, v15, vcc_lo
	v_cmp_eq_u32_e32 vcc_lo, 0x40f, v19
	s_waitcnt lgkmcnt(0)
	v_lshrrev_b32_e32 v20, 16, v4
	global_store_dword v[11:12], v1, off
	v_and_b32_e32 v13, 0xffff, v13
	s_mul_i32 s0, s9, 0x86c
	v_cndmask_b32_e32 v7, v15, v7, vcc_lo
	v_lshrrev_b32_e32 v15, v14, v18
	v_cmp_ne_u32_e32 vcc_lo, 0, v9
	v_mul_f16_sdwa v19, v77, v20 dst_sel:DWORD dst_unused:UNUSED_PAD src0_sel:WORD_1 src1_sel:DWORD
	s_add_i32 s2, s2, s0
	v_and_or_b32 v23, 0x8000, v8, v7
	v_lshlrev_b32_e32 v14, v14, v15
	v_cndmask_b32_e64 v9, 0, 1, vcc_lo
	v_fmac_f16_e32 v19, v77, v4
	v_mul_f16_sdwa v4, v77, v4 dst_sel:DWORD dst_unused:UNUSED_PAD src0_sel:WORD_1 src1_sel:DWORD
	v_lshrrev_b32_e32 v10, 16, v10
	v_cmp_ne_u32_e32 vcc_lo, v14, v18
	v_and_or_b32 v9, 0xffe, v21, v9
	v_sub_nc_u32_e32 v21, 0x3f1, v22
	v_cvt_f32_f16_e32 v18, v19
	v_fma_f16 v4, v77, v20, -v4
	v_cndmask_b32_e64 v14, 0, 1, vcc_lo
	v_or_b32_e32 v19, 0x1000, v9
	v_med3_i32 v21, v21, 0, 13
	v_cvt_f64_f32_e32 v[7:8], v18
	v_cmp_gt_i32_e32 vcc_lo, 1, v17
	v_or_b32_e32 v14, v15, v14
	v_lshl_or_b32 v15, v17, 12, v16
	v_lshrrev_b32_e32 v18, v21, v19
	v_cvt_f32_f16_e32 v4, v4
	v_lshrrev_b32_e32 v20, 16, v6
	v_cndmask_b32_e32 v1, v15, v14, vcc_lo
	v_lshlrev_b32_e32 v14, v21, v18
	v_lshl_or_b32 v21, v23, 16, v13
	v_and_b32_e32 v13, 7, v1
	v_cmp_ne_u32_e32 vcc_lo, v14, v19
	v_add_nc_u32_e32 v19, 0xfffffc10, v22
	v_lshrrev_b32_e32 v1, 2, v1
	v_cmp_eq_u32_e64 s0, 3, v13
	v_cndmask_b32_e64 v14, 0, 1, vcc_lo
	v_cmp_lt_i32_e32 vcc_lo, 5, v13
	v_lshl_or_b32 v15, v19, 12, v9
	v_cmp_gt_i32_e64 s1, 1, v19
	v_mul_f64 v[7:8], v[7:8], s[4:5]
	v_or_b32_e32 v14, v18, v14
	s_or_b32 vcc_lo, s0, vcc_lo
	v_add_co_ci_u32_e32 v1, vcc_lo, 0, v1, vcc_lo
	v_cndmask_b32_e64 v15, v15, v14, s1
	v_cvt_f64_f32_e32 v[13:14], v4
	v_cmp_ne_u32_e32 vcc_lo, 0, v16
	v_cmp_eq_u32_e64 s1, 0x40f, v17
	v_and_b32_e32 v16, 7, v15
	v_lshrrev_b32_e32 v15, 2, v15
	v_cndmask_b32_e64 v4, 0, 1, vcc_lo
	v_cmp_gt_i32_e32 vcc_lo, 31, v17
	v_cmp_eq_u32_e64 s0, 3, v16
	v_lshl_or_b32 v4, v4, 9, 0x7c00
	v_cndmask_b32_e32 v1, 0x7c00, v1, vcc_lo
	v_cmp_lt_i32_e32 vcc_lo, 5, v16
	v_lshrrev_b32_e32 v17, 8, v8
	v_bfe_u32 v18, v8, 20, 11
	v_cndmask_b32_e64 v1, v1, v4, s1
	s_or_b32 vcc_lo, s0, vcc_lo
	v_and_or_b32 v4, 0x1ff, v8, v7
	v_add_co_ci_u32_e32 v7, vcc_lo, 0, v15, vcc_lo
	v_cmp_ne_u32_e32 vcc_lo, 0, v9
	v_mul_f64 v[13:14], v[13:14], s[4:5]
	ds_read2_b32 v[15:16], v78 offset0:154 offset1:231
	v_sub_nc_u32_e32 v6, 0x3f1, v18
	v_and_or_b32 v1, 0x8000, v20, v1
	v_cndmask_b32_e64 v9, 0, 1, vcc_lo
	v_cmp_ne_u32_e32 vcc_lo, 0, v4
	v_add_nc_u32_e32 v23, 0xfffffc10, v18
	s_mul_hi_u32 s0, s8, 0xfffff8c8
	v_and_b32_e32 v1, 0xffff, v1
	v_lshl_or_b32 v9, v9, 9, 0x7c00
	v_cndmask_b32_e64 v4, 0, 1, vcc_lo
	v_cmp_gt_i32_e32 vcc_lo, 31, v19
	s_mul_i32 s1, s9, 0xfffff8c8
	s_sub_i32 s6, s0, s8
	v_and_or_b32 v4, 0xffe, v17, v4
	v_cndmask_b32_e32 v7, 0x7c00, v7, vcc_lo
	v_cmp_eq_u32_e32 vcc_lo, 0x40f, v19
	v_med3_i32 v19, v6, 0, 13
	s_add_i32 s6, s6, s1
	v_or_b32_e32 v17, 0x1000, v4
	s_waitcnt lgkmcnt(0)
	v_lshrrev_b32_e32 v20, 16, v15
	v_cndmask_b32_e32 v9, v7, v9, vcc_lo
	v_add_co_u32 v6, vcc_lo, v11, s3
	v_add_co_ci_u32_e32 v7, vcc_lo, s2, v12, vcc_lo
	v_and_or_b32 v11, 0x8000, v10, v9
	v_lshrrev_b32_e32 v9, v19, v17
	v_and_or_b32 v10, 0x1ff, v14, v13
	v_mul_f16_sdwa v13, v76, v20 dst_sel:DWORD dst_unused:UNUSED_PAD src0_sel:WORD_1 src1_sel:DWORD
	v_bfe_u32 v22, v14, 20, 11
	v_lshl_or_b32 v1, v11, 16, v1
	v_lshlrev_b32_e32 v12, v19, v9
	v_cmp_ne_u32_e32 vcc_lo, 0, v10
	v_lshrrev_b32_e32 v19, 8, v14
	v_fmac_f16_e32 v13, v76, v15
	v_mul_f16_sdwa v15, v76, v15 dst_sel:DWORD dst_unused:UNUSED_PAD src0_sel:WORD_1 src1_sel:DWORD
	v_lshrrev_b32_e32 v14, 16, v14
	v_cndmask_b32_e64 v10, 0, 1, vcc_lo
	v_cmp_ne_u32_e32 vcc_lo, v12, v17
	v_cvt_f32_f16_e32 v13, v13
	v_lshl_or_b32 v17, v23, 12, v4
	v_fma_f16 v15, v76, v20, -v15
	v_and_or_b32 v19, 0xffe, v19, v10
	v_cndmask_b32_e64 v12, 0, 1, vcc_lo
	v_sub_nc_u32_e32 v10, 0x3f1, v22
	v_cmp_gt_i32_e32 vcc_lo, 1, v23
	v_cvt_f32_f16_e32 v15, v15
	v_or_b32_e32 v18, 0x1000, v19
	v_or_b32_e32 v12, v9, v12
	v_med3_i32 v24, v10, 0, 13
	v_cvt_f64_f32_e32 v[9:10], v13
	v_add_nc_u32_e32 v20, 0xfffffc10, v22
	v_cndmask_b32_e32 v13, v17, v12, vcc_lo
	v_lshrrev_b32_e32 v17, v24, v18
	v_add_co_u32 v11, vcc_lo, v6, s7
	v_add_co_ci_u32_e32 v12, vcc_lo, s6, v7, vcc_lo
	v_lshlrev_b32_e32 v24, v24, v17
	v_and_b32_e32 v25, 7, v13
	v_lshrrev_b32_e32 v13, 2, v13
	global_store_dword v[6:7], v21, off
	global_store_dword v[11:12], v1, off
	v_cmp_ne_u32_e64 s0, v24, v18
	v_cmp_lt_i32_e32 vcc_lo, 5, v25
	v_cndmask_b32_e64 v18, 0, 1, s0
	v_cmp_eq_u32_e64 s0, 3, v25
	v_mul_f64 v[9:10], v[9:10], s[4:5]
	v_or_b32_e32 v22, v17, v18
	s_or_b32 vcc_lo, s0, vcc_lo
	v_cvt_f64_f32_e32 v[17:18], v15
	v_add_co_ci_u32_e32 v13, vcc_lo, 0, v13, vcc_lo
	v_cmp_ne_u32_e32 vcc_lo, 0, v4
	v_lshl_or_b32 v15, v20, 12, v19
	v_cndmask_b32_e64 v4, 0, 1, vcc_lo
	v_cmp_gt_i32_e32 vcc_lo, 1, v20
	v_lshl_or_b32 v4, v4, 9, 0x7c00
	v_cndmask_b32_e32 v15, v15, v22, vcc_lo
	v_cmp_gt_i32_e32 vcc_lo, 31, v23
	v_and_b32_e32 v1, 7, v15
	v_cndmask_b32_e32 v13, 0x7c00, v13, vcc_lo
	v_cmp_eq_u32_e32 vcc_lo, 0x40f, v23
	v_mul_f64 v[6:7], v[17:18], s[4:5]
	v_lshrrev_b32_e32 v17, 16, v5
	v_cmp_eq_u32_e64 s0, 3, v1
	v_cndmask_b32_e32 v4, v13, v4, vcc_lo
	v_lshrrev_b32_e32 v13, 16, v8
	v_and_or_b32 v8, 0x1ff, v10, v9
	v_cmp_lt_i32_e32 vcc_lo, 5, v1
	v_lshrrev_b32_e32 v1, 2, v15
	v_lshrrev_b32_e32 v9, 8, v10
	v_bfe_u32 v15, v10, 20, 11
	v_cmp_ne_u32_e64 s1, 0, v8
	s_or_b32 vcc_lo, s0, vcc_lo
	v_and_or_b32 v13, 0x8000, v13, v4
	v_add_co_ci_u32_e32 v1, vcc_lo, 0, v1, vcc_lo
	v_cndmask_b32_e64 v8, 0, 1, s1
	v_cmp_ne_u32_e32 vcc_lo, 0, v19
	v_lshrrev_b32_e32 v10, 16, v10
	v_and_or_b32 v18, 0xffe, v9, v8
	v_sub_nc_u32_e32 v8, 0x3f1, v15
	v_cndmask_b32_e64 v19, 0, 1, vcc_lo
	v_cmp_gt_i32_e32 vcc_lo, 31, v20
	v_mul_f16_sdwa v9, v75, v17 dst_sel:DWORD dst_unused:UNUSED_PAD src0_sel:WORD_1 src1_sel:DWORD
	v_or_b32_e32 v21, 0x1000, v18
	v_med3_i32 v8, v8, 0, 13
	v_lshl_or_b32 v19, v19, 9, 0x7c00
	v_cndmask_b32_e32 v1, 0x7c00, v1, vcc_lo
	v_and_or_b32 v6, 0x1ff, v7, v6
	v_cmp_eq_u32_e32 vcc_lo, 0x40f, v20
	v_lshrrev_b32_e32 v22, v8, v21
	v_fmac_f16_e32 v9, v75, v5
	v_add_nc_u32_e32 v15, 0xfffffc10, v15
	v_lshrrev_b32_e32 v20, 8, v7
	v_cndmask_b32_e32 v1, v1, v19, vcc_lo
	v_lshlrev_b32_e32 v19, v8, v22
	v_cmp_ne_u32_e32 vcc_lo, 0, v6
	v_cvt_f32_f16_e32 v9, v9
	v_bfe_u32 v23, v7, 20, 11
	v_mul_f16_sdwa v5, v75, v5 dst_sel:DWORD dst_unused:UNUSED_PAD src0_sel:WORD_1 src1_sel:DWORD
	v_and_or_b32 v1, 0x8000, v14, v1
	v_cndmask_b32_e64 v6, 0, 1, vcc_lo
	v_cmp_ne_u32_e32 vcc_lo, v19, v21
	v_cvt_f64_f32_e32 v[8:9], v9
	v_lshl_or_b32 v21, v15, 12, v18
	v_fma_f16 v17, v75, v17, -v5
	v_and_or_b32 v6, 0xffe, v20, v6
	v_cndmask_b32_e64 v19, 0, 1, vcc_lo
	v_cmp_gt_i32_e32 vcc_lo, 1, v15
	v_sub_nc_u32_e32 v20, 0x3f1, v23
	v_lshrrev_b32_e32 v7, 16, v7
	v_or_b32_e32 v19, v22, v19
	v_or_b32_e32 v22, 0x1000, v6
	v_med3_i32 v20, v20, 0, 13
	v_cndmask_b32_e32 v19, v21, v19, vcc_lo
	v_lshrrev_b32_e32 v14, v20, v22
	v_and_b32_e32 v21, 7, v19
	v_lshrrev_b32_e32 v19, 2, v19
	v_mul_f64 v[4:5], v[8:9], s[4:5]
	v_cvt_f32_f16_e32 v8, v17
	v_cmp_lt_i32_e32 vcc_lo, 5, v21
	v_cmp_eq_u32_e64 s0, 3, v21
	v_and_b32_e32 v17, 0xffff, v13
	v_lshlrev_b32_e32 v13, v20, v14
	v_cvt_f64_f32_e32 v[8:9], v8
	v_add_nc_u32_e32 v20, 0xfffffc10, v23
	s_or_b32 vcc_lo, s0, vcc_lo
	v_lshl_or_b32 v1, v1, 16, v17
	v_add_co_ci_u32_e32 v19, vcc_lo, 0, v19, vcc_lo
	v_cmp_ne_u32_e64 s1, v13, v22
	v_cmp_ne_u32_e32 vcc_lo, 0, v18
	v_cndmask_b32_e64 v13, 0, 1, s1
	v_cndmask_b32_e64 v18, 0, 1, vcc_lo
	v_cmp_gt_i32_e32 vcc_lo, 31, v15
	v_or_b32_e32 v13, v14, v13
	v_lshl_or_b32 v14, v20, 12, v6
	v_cndmask_b32_e32 v19, 0x7c00, v19, vcc_lo
	v_cmp_gt_i32_e32 vcc_lo, 1, v20
	v_lshl_or_b32 v18, v18, 9, 0x7c00
	v_and_or_b32 v4, 0x1ff, v5, v4
	v_mul_f64 v[8:9], v[8:9], s[4:5]
	v_cndmask_b32_e32 v13, v14, v13, vcc_lo
	v_cmp_eq_u32_e32 vcc_lo, 0x40f, v15
	v_and_b32_e32 v15, 7, v13
	v_cndmask_b32_e32 v14, v19, v18, vcc_lo
	v_cmp_ne_u32_e32 vcc_lo, 0, v4
	v_lshrrev_b32_e32 v18, 8, v5
	v_bfe_u32 v19, v5, 20, 11
	v_cmp_eq_u32_e64 s0, 3, v15
	v_lshrrev_b32_e32 v13, 2, v13
	v_cndmask_b32_e64 v4, 0, 1, vcc_lo
	v_cmp_lt_i32_e32 vcc_lo, 5, v15
	v_sub_nc_u32_e32 v15, 0x3f1, v19
	v_and_or_b32 v10, 0x8000, v10, v14
	v_add_nc_u32_e32 v19, 0xfffffc10, v19
	v_and_or_b32 v4, 0xffe, v18, v4
	s_or_b32 vcc_lo, s0, vcc_lo
	v_lshrrev_b32_e32 v18, 16, v16
	v_add_co_ci_u32_e32 v13, vcc_lo, 0, v13, vcc_lo
	v_or_b32_e32 v21, 0x1000, v4
	v_med3_i32 v15, v15, 0, 13
	v_cmp_gt_i32_e32 vcc_lo, 31, v20
	v_mul_f16_sdwa v22, v74, v18 dst_sel:DWORD dst_unused:UNUSED_PAD src0_sel:WORD_1 src1_sel:DWORD
	v_and_or_b32 v8, 0x1ff, v9, v8
	v_bfe_u32 v25, v9, 20, 11
	v_lshrrev_b32_e32 v24, v15, v21
	v_cndmask_b32_e32 v23, 0x7c00, v13, vcc_lo
	v_cmp_ne_u32_e32 vcc_lo, 0, v6
	v_fmac_f16_e32 v22, v74, v16
	v_lshlrev_b32_e32 v15, v15, v24
	v_cndmask_b32_e64 v6, 0, 1, vcc_lo
	v_cmp_ne_u32_e32 vcc_lo, 0, v8
	v_cvt_f32_f16_e32 v13, v22
	v_lshrrev_b32_e32 v22, 8, v9
	v_lshrrev_b32_e32 v9, 16, v9
	v_lshl_or_b32 v6, v6, 9, 0x7c00
	v_cndmask_b32_e64 v8, 0, 1, vcc_lo
	v_cmp_ne_u32_e32 vcc_lo, v15, v21
	v_cvt_f64_f32_e32 v[13:14], v13
	v_sub_nc_u32_e32 v21, 0x3f1, v25
	v_and_or_b32 v8, 0xffe, v22, v8
	v_cndmask_b32_e64 v15, 0, 1, vcc_lo
	v_cmp_eq_u32_e32 vcc_lo, 0x40f, v20
	v_med3_i32 v21, v21, 0, 13
	v_lshl_or_b32 v22, v19, 12, v4
	v_or_b32_e32 v15, v24, v15
	v_or_b32_e32 v24, 0x1000, v8
	v_cndmask_b32_e32 v6, v23, v6, vcc_lo
	v_cmp_gt_i32_e32 vcc_lo, 1, v19
	v_lshrrev_b32_e32 v20, v21, v24
	v_and_or_b32 v17, 0x8000, v7, v6
	v_cndmask_b32_e32 v15, v22, v15, vcc_lo
	v_and_b32_e32 v22, 0xffff, v10
	v_add_co_u32 v10, vcc_lo, v11, s3
	v_lshlrev_b32_e32 v21, v21, v20
	v_and_b32_e32 v23, 7, v15
	v_mul_f64 v[6:7], v[13:14], s[4:5]
	v_mul_f16_sdwa v13, v74, v16 dst_sel:DWORD dst_unused:UNUSED_PAD src0_sel:WORD_1 src1_sel:DWORD
	v_add_co_ci_u32_e32 v11, vcc_lo, s2, v12, vcc_lo
	v_cmp_ne_u32_e64 s0, v21, v24
	v_cmp_lt_i32_e32 vcc_lo, 5, v23
	v_fma_f16 v12, v74, v18, -v13
	v_lshrrev_b32_e32 v14, 2, v15
	v_add_nc_u32_e32 v18, 0xfffffc10, v25
	v_cndmask_b32_e64 v13, 0, 1, s0
	v_cmp_eq_u32_e64 s0, 3, v23
	v_cvt_f32_f16_e32 v12, v12
	v_lshl_or_b32 v22, v17, 16, v22
	v_lshl_or_b32 v16, v18, 12, v8
	v_or_b32_e32 v15, v20, v13
	s_or_b32 vcc_lo, s0, vcc_lo
	v_cvt_f64_f32_e32 v[12:13], v12
	v_add_co_ci_u32_e32 v14, vcc_lo, 0, v14, vcc_lo
	v_cmp_ne_u32_e32 vcc_lo, 0, v4
	v_lshrrev_b32_e32 v23, 16, v5
	global_store_dword v[10:11], v1, off
	v_and_or_b32 v6, 0x1ff, v7, v6
	v_bfe_u32 v20, v7, 20, 11
	v_cndmask_b32_e64 v4, 0, 1, vcc_lo
	v_cmp_gt_i32_e32 vcc_lo, 1, v18
	v_lshl_or_b32 v4, v4, 9, 0x7c00
	v_cndmask_b32_e32 v16, v16, v15, vcc_lo
	v_cmp_gt_i32_e32 vcc_lo, 31, v19
	v_lshrrev_b32_e32 v15, 8, v7
	v_and_b32_e32 v17, 7, v16
	v_cndmask_b32_e32 v14, 0x7c00, v14, vcc_lo
	v_cmp_ne_u32_e32 vcc_lo, 0, v6
	v_mul_f64 v[12:13], v[12:13], s[4:5]
	v_lshrrev_b32_e32 v16, 2, v16
	v_cmp_eq_u32_e64 s0, 3, v17
	v_cndmask_b32_e64 v6, 0, 1, vcc_lo
	v_cmp_eq_u32_e32 vcc_lo, 0x40f, v19
	v_and_or_b32 v6, 0xffe, v15, v6
	v_cndmask_b32_e32 v19, v14, v4, vcc_lo
	v_sub_nc_u32_e32 v4, 0x3f1, v20
	ds_read2_b32 v[14:15], v2 offset0:2 offset1:79
	v_cmp_lt_i32_e32 vcc_lo, 5, v17
	v_or_b32_e32 v17, 0x1000, v6
	v_and_or_b32 v19, 0x8000, v23, v19
	v_med3_i32 v21, v4, 0, 13
	v_add_nc_u32_e32 v20, 0xfffffc10, v20
	s_or_b32 vcc_lo, s0, vcc_lo
	v_add_co_ci_u32_e32 v16, vcc_lo, 0, v16, vcc_lo
	v_lshrrev_b32_e32 v24, v21, v17
	v_add_co_u32 v4, vcc_lo, v10, s7
	v_add_co_ci_u32_e32 v5, vcc_lo, s6, v11, vcc_lo
	v_lshlrev_b32_e32 v21, v21, v24
	v_cmp_gt_i32_e32 vcc_lo, 31, v18
	v_and_or_b32 v12, 0x1ff, v13, v12
	v_bfe_u32 v26, v13, 20, 11
	global_store_dword v[4:5], v22, off
	s_waitcnt lgkmcnt(0)
	v_lshrrev_b32_e32 v25, 16, v14
	v_cndmask_b32_e32 v23, 0x7c00, v16, vcc_lo
	v_cmp_ne_u32_e32 vcc_lo, v21, v17
	v_lshl_or_b32 v21, v20, 12, v6
	v_and_b32_e32 v19, 0xffff, v19
	v_mul_f16_sdwa v17, v73, v25 dst_sel:DWORD dst_unused:UNUSED_PAD src0_sel:WORD_1 src1_sel:DWORD
	v_cndmask_b32_e64 v16, 0, 1, vcc_lo
	v_cmp_ne_u32_e32 vcc_lo, 0, v8
	v_fmac_f16_e32 v17, v73, v14
	v_mul_f16_sdwa v14, v73, v14 dst_sel:DWORD dst_unused:UNUSED_PAD src0_sel:WORD_1 src1_sel:DWORD
	v_or_b32_e32 v16, v24, v16
	v_cndmask_b32_e64 v8, 0, 1, vcc_lo
	v_cmp_ne_u32_e32 vcc_lo, 0, v12
	v_lshrrev_b32_e32 v24, 8, v13
	v_cvt_f32_f16_e32 v17, v17
	v_lshrrev_b32_e32 v13, 16, v13
	v_lshl_or_b32 v8, v8, 9, 0x7c00
	v_cndmask_b32_e64 v12, 0, 1, vcc_lo
	v_cmp_gt_i32_e32 vcc_lo, 1, v20
	v_and_or_b32 v12, 0xffe, v24, v12
	v_sub_nc_u32_e32 v24, 0x3f1, v26
	v_cndmask_b32_e32 v21, v21, v16, vcc_lo
	v_cvt_f64_f32_e32 v[16:17], v17
	v_cmp_eq_u32_e32 vcc_lo, 0x40f, v18
	v_or_b32_e32 v28, 0x1000, v12
	v_med3_i32 v24, v24, 0, 13
	v_and_b32_e32 v27, 7, v21
	v_cndmask_b32_e32 v8, v23, v8, vcc_lo
	v_lshrrev_b32_e32 v18, v24, v28
	v_cmp_lt_i32_e32 vcc_lo, 5, v27
	v_cmp_eq_u32_e64 s0, 3, v27
	v_and_or_b32 v23, 0x8000, v9, v8
	v_lshrrev_b32_e32 v8, 2, v21
	v_fma_f16 v9, v73, v25, -v14
	v_lshlrev_b32_e32 v14, v24, v18
	s_or_b32 vcc_lo, s0, vcc_lo
	v_add_nc_u32_e32 v25, 0xfffffc10, v26
	v_add_co_ci_u32_e32 v21, vcc_lo, 0, v8, vcc_lo
	v_cmp_ne_u32_e32 vcc_lo, v14, v28
	v_cvt_f32_f16_e32 v24, v9
	v_lshl_or_b32 v19, v23, 16, v19
	v_mul_f64 v[8:9], v[16:17], s[4:5]
	v_cndmask_b32_e64 v14, 0, 1, vcc_lo
	v_cmp_ne_u32_e32 vcc_lo, 0, v6
	v_cvt_f64_f32_e32 v[16:17], v24
	v_or_b32_e32 v14, v18, v14
	v_cndmask_b32_e64 v6, 0, 1, vcc_lo
	v_cmp_gt_i32_e32 vcc_lo, 31, v20
	v_lshl_or_b32 v18, v25, 12, v12
	v_lshl_or_b32 v6, v6, 9, 0x7c00
	v_cndmask_b32_e32 v21, 0x7c00, v21, vcc_lo
	v_cmp_gt_i32_e32 vcc_lo, 1, v25
	v_cndmask_b32_e32 v14, v18, v14, vcc_lo
	v_cmp_eq_u32_e32 vcc_lo, 0x40f, v20
	v_lshrrev_b32_e32 v20, 16, v7
	v_and_or_b32 v8, 0x1ff, v9, v8
	v_and_b32_e32 v1, 7, v14
	v_cndmask_b32_e32 v18, v21, v6, vcc_lo
	ds_read2_b32 v[6:7], v3 offset0:52 offset1:129
	v_mul_f64 v[10:11], v[16:17], s[4:5]
	v_cmp_ne_u32_e64 s1, 0, v8
	v_cmp_lt_i32_e32 vcc_lo, 5, v1
	v_cmp_eq_u32_e64 s0, 3, v1
	v_lshrrev_b32_e32 v1, 2, v14
	v_and_or_b32 v3, 0x8000, v20, v18
	v_cndmask_b32_e64 v8, 0, 1, s1
	v_lshrrev_b32_e32 v14, 8, v9
	v_bfe_u32 v18, v9, 20, 11
	s_or_b32 vcc_lo, s0, vcc_lo
	v_add_co_ci_u32_e32 v1, vcc_lo, 0, v1, vcc_lo
	v_and_or_b32 v8, 0xffe, v14, v8
	v_sub_nc_u32_e32 v14, 0x3f1, v18
	v_cmp_ne_u32_e32 vcc_lo, 0, v12
	v_or_b32_e32 v21, 0x1000, v8
	s_waitcnt lgkmcnt(0)
	v_lshrrev_b32_e32 v20, 16, v6
	v_cndmask_b32_e64 v12, 0, 1, vcc_lo
	v_med3_i32 v14, v14, 0, 13
	v_cmp_gt_i32_e32 vcc_lo, 31, v25
	v_and_or_b32 v10, 0x1ff, v11, v10
	v_mul_f16_sdwa v16, v72, v20 dst_sel:DWORD dst_unused:UNUSED_PAD src0_sel:WORD_1 src1_sel:DWORD
	v_lshl_or_b32 v12, v12, 9, 0x7c00
	v_lshrrev_b32_e32 v22, v14, v21
	v_cndmask_b32_e32 v1, 0x7c00, v1, vcc_lo
	v_cmp_eq_u32_e32 vcc_lo, 0x40f, v25
	v_fmac_f16_e32 v16, v72, v6
	v_lshrrev_b32_e32 v23, 8, v11
	v_bfe_u32 v24, v11, 20, 11
	v_cndmask_b32_e32 v1, v1, v12, vcc_lo
	v_lshlrev_b32_e32 v12, v14, v22
	v_cmp_ne_u32_e32 vcc_lo, 0, v10
	v_cvt_f32_f16_e32 v14, v16
	v_and_or_b32 v1, 0x8000, v13, v1
	v_and_b32_e32 v13, 0xffff, v3
	v_cndmask_b32_e64 v10, 0, 1, vcc_lo
	v_cmp_ne_u32_e32 vcc_lo, v12, v21
	v_cvt_f64_f32_e32 v[16:17], v14
	v_add_nc_u32_e32 v14, 0xfffffc10, v18
	v_sub_nc_u32_e32 v18, 0x3f1, v24
	v_and_or_b32 v10, 0xffe, v23, v10
	v_cndmask_b32_e64 v12, 0, 1, vcc_lo
	v_lshl_or_b32 v1, v1, 16, v13
	v_lshl_or_b32 v21, v14, 12, v8
	v_med3_i32 v18, v18, 0, 13
	v_cmp_gt_i32_e32 vcc_lo, 1, v14
	v_or_b32_e32 v12, v22, v12
	v_or_b32_e32 v22, 0x1000, v10
	v_cndmask_b32_e32 v21, v21, v12, vcc_lo
	v_lshrrev_b32_e32 v23, v18, v22
	v_add_co_u32 v3, vcc_lo, v4, s3
	v_add_co_ci_u32_e32 v4, vcc_lo, s2, v5, vcc_lo
	v_lshlrev_b32_e32 v18, v18, v23
	v_and_b32_e32 v25, 7, v21
	v_mul_f64 v[12:13], v[16:17], s[4:5]
	v_mul_f16_sdwa v16, v72, v6 dst_sel:DWORD dst_unused:UNUSED_PAD src0_sel:WORD_1 src1_sel:DWORD
	v_add_co_u32 v5, vcc_lo, v3, s7
	v_cmp_ne_u32_e64 s0, v18, v22
	v_add_co_ci_u32_e32 v6, vcc_lo, s6, v4, vcc_lo
	v_cmp_lt_i32_e32 vcc_lo, 5, v25
	v_fma_f16 v16, v72, v20, -v16
	v_cndmask_b32_e64 v17, 0, 1, s0
	v_cmp_eq_u32_e64 s0, 3, v25
	v_lshrrev_b32_e32 v20, 2, v21
	v_add_nc_u32_e32 v18, 0xfffffc10, v24
	v_cvt_f32_f16_e32 v16, v16
	v_or_b32_e32 v21, v23, v17
	s_or_b32 vcc_lo, s0, vcc_lo
	global_store_dword v[3:4], v19, off
	global_store_dword v[5:6], v1, off
	v_add_co_ci_u32_e32 v20, vcc_lo, 0, v20, vcc_lo
	v_cmp_ne_u32_e32 vcc_lo, 0, v8
	v_cvt_f64_f32_e32 v[16:17], v16
	v_lshl_or_b32 v22, v18, 12, v10
	v_and_or_b32 v12, 0x1ff, v13, v12
	v_lshrrev_b32_e32 v23, 8, v13
	v_cndmask_b32_e64 v8, 0, 1, vcc_lo
	v_cmp_gt_i32_e32 vcc_lo, 1, v18
	v_bfe_u32 v24, v13, 20, 11
	v_lshrrev_b32_e32 v13, 16, v13
	v_lshl_or_b32 v8, v8, 9, 0x7c00
	v_cndmask_b32_e32 v21, v22, v21, vcc_lo
	v_cmp_gt_i32_e32 vcc_lo, 31, v14
	v_and_b32_e32 v22, 7, v21
	v_cndmask_b32_e32 v20, 0x7c00, v20, vcc_lo
	v_cmp_ne_u32_e32 vcc_lo, 0, v12
	v_cmp_eq_u32_e64 s0, 3, v22
	v_cndmask_b32_e64 v12, 0, 1, vcc_lo
	v_cmp_eq_u32_e32 vcc_lo, 0x40f, v14
	v_and_or_b32 v12, 0xffe, v23, v12
	v_cndmask_b32_e32 v14, v20, v8, vcc_lo
	v_cmp_lt_i32_e32 vcc_lo, 5, v22
	v_lshrrev_b32_e32 v20, 16, v9
	v_mul_f64 v[8:9], v[16:17], s[4:5]
	v_lshrrev_b32_e32 v17, 2, v21
	v_sub_nc_u32_e32 v23, 0x3f1, v24
	s_or_b32 vcc_lo, s0, vcc_lo
	v_or_b32_e32 v21, 0x1000, v12
	v_lshrrev_b32_e32 v16, 16, v15
	v_add_co_ci_u32_e32 v17, vcc_lo, 0, v17, vcc_lo
	v_med3_i32 v22, v23, 0, 13
	v_cmp_ne_u32_e32 vcc_lo, 0, v10
	v_mul_f16_sdwa v23, v71, v16 dst_sel:DWORD dst_unused:UNUSED_PAD src0_sel:WORD_1 src1_sel:DWORD
	v_and_or_b32 v14, 0x8000, v20, v14
	v_lshrrev_b32_e32 v25, v22, v21
	v_cndmask_b32_e64 v10, 0, 1, vcc_lo
	v_cmp_gt_i32_e32 vcc_lo, 31, v18
	v_fmac_f16_e32 v23, v71, v15
	v_and_b32_e32 v14, 0xffff, v14
	v_lshlrev_b32_e32 v20, v22, v25
	v_lshl_or_b32 v10, v10, 9, 0x7c00
	v_cndmask_b32_e32 v17, 0x7c00, v17, vcc_lo
	v_cmp_eq_u32_e32 vcc_lo, 0x40f, v18
	v_and_or_b32 v8, 0x1ff, v9, v8
	v_cvt_f32_f16_e32 v22, v23
	v_lshrrev_b32_e32 v18, 16, v11
	v_bfe_u32 v23, v9, 20, 11
	v_cndmask_b32_e32 v17, v17, v10, vcc_lo
	v_cmp_ne_u32_e32 vcc_lo, v20, v21
	v_cvt_f64_f32_e32 v[10:11], v22
	v_add_nc_u32_e32 v21, 0xfffffc10, v24
	v_lshrrev_b32_e32 v22, 8, v9
	v_and_or_b32 v17, 0x8000, v18, v17
	v_cndmask_b32_e64 v20, 0, 1, vcc_lo
	v_cmp_ne_u32_e32 vcc_lo, 0, v8
	v_lshl_or_b32 v1, v17, 16, v14
	v_or_b32_e32 v18, v25, v20
	v_cndmask_b32_e64 v8, 0, 1, vcc_lo
	v_lshl_or_b32 v20, v21, 12, v12
	v_cmp_gt_i32_e32 vcc_lo, 1, v21
	v_and_or_b32 v8, 0xffe, v22, v8
	v_sub_nc_u32_e32 v22, 0x3f1, v23
	v_cndmask_b32_e32 v18, v20, v18, vcc_lo
	v_add_co_u32 v5, vcc_lo, v5, s3
	v_or_b32_e32 v20, 0x1000, v8
	v_med3_i32 v22, v22, 0, 13
	v_and_b32_e32 v14, 7, v18
	v_mul_f64 v[3:4], v[10:11], s[4:5]
	v_mul_f16_sdwa v11, v71, v15 dst_sel:DWORD dst_unused:UNUSED_PAD src0_sel:WORD_1 src1_sel:DWORD
	v_add_co_ci_u32_e32 v6, vcc_lo, s2, v6, vcc_lo
	v_lshrrev_b32_e32 v17, v22, v20
	v_cmp_lt_i32_e32 vcc_lo, 5, v14
	v_cmp_eq_u32_e64 s0, 3, v14
	v_lshrrev_b32_e32 v14, 2, v18
	v_fma_f16 v11, v71, v16, -v11
	v_lshlrev_b32_e32 v10, v22, v17
	v_add_nc_u32_e32 v15, 0xfffffc10, v23
	s_or_b32 vcc_lo, s0, vcc_lo
	global_store_dword v[5:6], v1, off
	v_add_co_ci_u32_e32 v14, vcc_lo, 0, v14, vcc_lo
	v_cmp_ne_u32_e64 s1, v10, v20
	v_cvt_f32_f16_e32 v11, v11
	v_cmp_ne_u32_e32 vcc_lo, 0, v12
	v_cndmask_b32_e64 v10, 0, 1, s1
	v_cndmask_b32_e64 v12, 0, 1, vcc_lo
	v_cmp_gt_i32_e32 vcc_lo, 1, v15
	v_and_or_b32 v3, 0x1ff, v4, v3
	v_or_b32_e32 v16, v17, v10
	v_cvt_f64_f32_e32 v[10:11], v11
	v_lshl_or_b32 v17, v15, 12, v8
	v_lshl_or_b32 v12, v12, 9, 0x7c00
	v_lshrrev_b32_e32 v18, 8, v4
	v_bfe_u32 v19, v4, 20, 11
	v_cndmask_b32_e32 v16, v17, v16, vcc_lo
	v_cmp_gt_i32_e32 vcc_lo, 31, v21
	v_and_b32_e32 v17, 7, v16
	v_cndmask_b32_e32 v14, 0x7c00, v14, vcc_lo
	v_cmp_ne_u32_e32 vcc_lo, 0, v3
	v_lshrrev_b32_e32 v16, 2, v16
	v_cmp_eq_u32_e64 s0, 3, v17
	v_cndmask_b32_e64 v3, 0, 1, vcc_lo
	v_cmp_eq_u32_e32 vcc_lo, 0x40f, v21
	v_mul_f64 v[10:11], v[10:11], s[4:5]
	v_and_or_b32 v3, 0xffe, v18, v3
	v_cndmask_b32_e32 v12, v14, v12, vcc_lo
	v_cmp_lt_i32_e32 vcc_lo, 5, v17
	v_sub_nc_u32_e32 v14, 0x3f1, v19
	v_lshrrev_b32_e32 v18, 16, v7
	v_or_b32_e32 v17, 0x1000, v3
	v_and_or_b32 v12, 0x8000, v13, v12
	s_or_b32 vcc_lo, s0, vcc_lo
	v_med3_i32 v14, v14, 0, 13
	v_add_co_ci_u32_e32 v16, vcc_lo, 0, v16, vcc_lo
	v_cmp_ne_u32_e32 vcc_lo, 0, v8
	v_mul_f16_sdwa v21, v70, v18 dst_sel:DWORD dst_unused:UNUSED_PAD src0_sel:WORD_1 src1_sel:DWORD
	v_lshrrev_b32_e32 v20, v14, v17
	v_and_b32_e32 v12, 0xffff, v12
	v_cndmask_b32_e64 v8, 0, 1, vcc_lo
	v_cmp_gt_i32_e32 vcc_lo, 31, v15
	v_lshlrev_b32_e32 v13, v14, v20
	v_fmac_f16_e32 v21, v70, v7
	v_mul_f16_sdwa v7, v70, v7 dst_sel:DWORD dst_unused:UNUSED_PAD src0_sel:WORD_1 src1_sel:DWORD
	v_lshl_or_b32 v8, v8, 9, 0x7c00
	v_cndmask_b32_e32 v16, 0x7c00, v16, vcc_lo
	v_cmp_eq_u32_e32 vcc_lo, 0x40f, v15
	v_and_or_b32 v10, 0x1ff, v11, v10
	v_lshrrev_b32_e32 v15, 16, v9
	v_fma_f16 v7, v70, v18, -v7
	v_cndmask_b32_e32 v14, v16, v8, vcc_lo
	v_cmp_ne_u32_e32 vcc_lo, v13, v17
	v_cvt_f32_f16_e32 v8, v21
	v_add_nc_u32_e32 v16, 0xfffffc10, v19
	v_lshrrev_b32_e32 v17, 8, v11
	v_and_or_b32 v14, 0x8000, v15, v14
	v_cndmask_b32_e64 v13, 0, 1, vcc_lo
	v_cmp_ne_u32_e32 vcc_lo, 0, v10
	v_cvt_f64_f32_e32 v[8:9], v8
	v_lshl_or_b32 v15, v16, 12, v3
	v_bfe_u32 v19, v11, 20, 11
	v_or_b32_e32 v13, v20, v13
	v_cndmask_b32_e64 v10, 0, 1, vcc_lo
	v_cmp_gt_i32_e32 vcc_lo, 1, v16
	v_lshl_or_b32 v1, v14, 16, v12
	v_cvt_f32_f16_e32 v7, v7
	v_add_nc_u32_e32 v18, 0xfffffc10, v19
	v_and_or_b32 v10, 0xffe, v17, v10
	v_cndmask_b32_e32 v13, v15, v13, vcc_lo
	v_sub_nc_u32_e32 v15, 0x3f1, v19
	v_add_co_u32 v5, vcc_lo, v5, s7
	v_or_b32_e32 v14, 0x1000, v10
	v_and_b32_e32 v12, 7, v13
	v_med3_i32 v15, v15, 0, 13
	v_add_co_ci_u32_e32 v6, vcc_lo, s6, v6, vcc_lo
	v_lshrrev_b32_e32 v11, 16, v11
	v_cmp_lt_i32_e32 vcc_lo, 5, v12
	v_lshrrev_b32_e32 v17, v15, v14
	v_cmp_eq_u32_e64 s0, 3, v12
	v_mul_f64 v[8:9], v[8:9], s[4:5]
	global_store_dword v[5:6], v1, off
	v_lshrrev_b32_e32 v1, 2, v13
	v_lshlrev_b32_e32 v12, v15, v17
	s_or_b32 vcc_lo, s0, vcc_lo
	v_add_co_u32 v5, s1, v5, s3
	v_add_co_ci_u32_e32 v15, vcc_lo, 0, v1, vcc_lo
	v_cmp_ne_u32_e32 vcc_lo, v12, v14
	ds_read2_b32 v[1:2], v2 offset0:156 offset1:233
	v_cvt_f64_f32_e32 v[12:13], v7
	v_add_co_ci_u32_e64 v6, s1, s2, v6, s1
	v_cndmask_b32_e64 v14, 0, 1, vcc_lo
	v_cmp_ne_u32_e32 vcc_lo, 0, v3
	v_or_b32_e32 v7, v17, v14
	v_cndmask_b32_e64 v3, 0, 1, vcc_lo
	v_cmp_gt_i32_e32 vcc_lo, 31, v16
	v_lshl_or_b32 v14, v18, 12, v10
	v_and_or_b32 v8, 0x1ff, v9, v8
	v_bfe_u32 v17, v9, 20, 11
	v_lshl_or_b32 v3, v3, 9, 0x7c00
	v_cndmask_b32_e32 v15, 0x7c00, v15, vcc_lo
	v_cmp_gt_i32_e32 vcc_lo, 1, v18
	v_sub_nc_u32_e32 v19, 0x3f1, v17
	s_waitcnt lgkmcnt(0)
	v_lshrrev_b32_e32 v20, 16, v1
	v_cndmask_b32_e32 v7, v14, v7, vcc_lo
	v_cmp_ne_u32_e32 vcc_lo, 0, v8
	v_lshrrev_b32_e32 v14, 8, v9
	v_lshrrev_b32_e32 v9, 16, v9
	v_cndmask_b32_e64 v8, 0, 1, vcc_lo
	v_cmp_eq_u32_e32 vcc_lo, 0x40f, v16
	v_and_b32_e32 v16, 7, v7
	v_lshrrev_b32_e32 v7, 2, v7
	v_and_or_b32 v14, 0xffe, v14, v8
	v_cndmask_b32_e32 v15, v15, v3, vcc_lo
	v_cmp_lt_i32_e32 vcc_lo, 5, v16
	v_cmp_eq_u32_e64 s0, 3, v16
	v_lshrrev_b32_e32 v8, 16, v4
	v_mul_f64 v[3:4], v[12:13], s[4:5]
	v_or_b32_e32 v21, 0x1000, v14
	v_med3_i32 v12, v19, 0, 13
	v_mul_f16_sdwa v13, v69, v20 dst_sel:DWORD dst_unused:UNUSED_PAD src0_sel:WORD_1 src1_sel:DWORD
	s_or_b32 vcc_lo, s0, vcc_lo
	v_and_or_b32 v15, 0x8000, v8, v15
	v_add_co_ci_u32_e32 v7, vcc_lo, 0, v7, vcc_lo
	v_lshrrev_b32_e32 v16, v12, v21
	v_cmp_ne_u32_e32 vcc_lo, 0, v10
	v_fmac_f16_e32 v13, v69, v1
	v_and_b32_e32 v15, 0xffff, v15
	v_mul_f16_sdwa v1, v69, v1 dst_sel:DWORD dst_unused:UNUSED_PAD src0_sel:WORD_1 src1_sel:DWORD
	v_lshlrev_b32_e32 v12, v12, v16
	v_cndmask_b32_e64 v8, 0, 1, vcc_lo
	v_cmp_gt_i32_e32 vcc_lo, 31, v18
	v_cvt_f32_f16_e32 v10, v13
	v_fma_f16 v1, v69, v20, -v1
	v_lshl_or_b32 v19, v8, 9, 0x7c00
	v_cndmask_b32_e32 v13, 0x7c00, v7, vcc_lo
	v_cmp_ne_u32_e32 vcc_lo, v12, v21
	v_cvt_f64_f32_e32 v[7:8], v10
	v_and_or_b32 v3, 0x1ff, v4, v3
	v_add_nc_u32_e32 v12, 0xfffffc10, v17
	v_lshrrev_b32_e32 v17, 8, v4
	v_cndmask_b32_e64 v10, 0, 1, vcc_lo
	v_cmp_eq_u32_e32 vcc_lo, 0x40f, v18
	v_bfe_u32 v18, v4, 20, 11
	v_cvt_f32_f16_e32 v1, v1
	v_or_b32_e32 v10, v16, v10
	v_cndmask_b32_e32 v13, v13, v19, vcc_lo
	v_cmp_ne_u32_e32 vcc_lo, 0, v3
	v_lshl_or_b32 v16, v12, 12, v14
	v_and_or_b32 v11, 0x8000, v11, v13
	v_cndmask_b32_e64 v3, 0, 1, vcc_lo
	v_cmp_gt_i32_e32 vcc_lo, 1, v12
	v_sub_nc_u32_e32 v13, 0x3f1, v18
	v_lshl_or_b32 v15, v11, 16, v15
	v_and_or_b32 v3, 0xffe, v17, v3
	v_cndmask_b32_e32 v10, v16, v10, vcc_lo
	v_mul_f64 v[7:8], v[7:8], s[4:5]
	v_med3_i32 v13, v13, 0, 13
	v_or_b32_e32 v17, 0x1000, v3
	v_and_b32_e32 v16, 7, v10
	v_lshrrev_b32_e32 v10, 2, v10
	v_cmp_lt_i32_e32 vcc_lo, 5, v16
	v_cmp_eq_u32_e64 s0, 3, v16
	v_lshrrev_b32_e32 v16, v13, v17
	s_or_b32 vcc_lo, s0, vcc_lo
	v_lshlrev_b32_e32 v11, v13, v16
	v_add_co_ci_u32_e32 v13, vcc_lo, 0, v10, vcc_lo
	v_cmp_ne_u32_e32 vcc_lo, v11, v17
	v_and_or_b32 v7, 0x1ff, v8, v7
	v_cvt_f64_f32_e32 v[10:11], v1
	v_add_nc_u32_e32 v1, 0xfffffc10, v18
	v_lshrrev_b32_e32 v18, 8, v8
	v_cndmask_b32_e64 v17, 0, 1, vcc_lo
	v_cmp_gt_i32_e32 vcc_lo, 31, v12
	v_bfe_u32 v19, v8, 20, 11
	v_or_b32_e32 v16, v16, v17
	v_cndmask_b32_e32 v13, 0x7c00, v13, vcc_lo
	v_cmp_ne_u32_e32 vcc_lo, 0, v7
	v_lshl_or_b32 v17, v1, 12, v3
	v_cndmask_b32_e64 v7, 0, 1, vcc_lo
	v_cmp_ne_u32_e32 vcc_lo, 0, v14
	v_and_or_b32 v7, 0xffe, v18, v7
	v_cndmask_b32_e64 v14, 0, 1, vcc_lo
	v_cmp_gt_i32_e32 vcc_lo, 1, v1
	v_lshrrev_b32_e32 v18, 16, v0
	v_mul_f64 v[10:11], v[10:11], s[4:5]
	v_or_b32_e32 v21, 0x1000, v7
	v_lshl_or_b32 v14, v14, 9, 0x7c00
	v_cndmask_b32_e32 v16, v17, v16, vcc_lo
	v_sub_nc_u32_e32 v17, 0x3f1, v19
	v_cmp_eq_u32_e32 vcc_lo, 0x40f, v12
	v_mul_f16_sdwa v22, v68, v18 dst_sel:DWORD dst_unused:UNUSED_PAD src0_sel:WORD_1 src1_sel:DWORD
	v_add_nc_u32_e32 v19, 0xfffffc10, v19
	v_and_b32_e32 v20, 7, v16
	v_med3_i32 v17, v17, 0, 13
	v_cndmask_b32_e32 v12, v13, v14, vcc_lo
	v_fmac_f16_e32 v22, v68, v0
	v_mul_f16_sdwa v0, v68, v0 dst_sel:DWORD dst_unused:UNUSED_PAD src0_sel:WORD_1 src1_sel:DWORD
	v_cmp_lt_i32_e32 vcc_lo, 5, v20
	v_lshrrev_b32_e32 v14, v17, v21
	v_cmp_eq_u32_e64 s0, 3, v20
	v_and_or_b32 v9, 0x8000, v9, v12
	v_lshrrev_b32_e32 v12, 2, v16
	v_cvt_f32_f16_e32 v16, v22
	v_lshlrev_b32_e32 v13, v17, v14
	s_or_b32 vcc_lo, s0, vcc_lo
	v_and_b32_e32 v9, 0xffff, v9
	v_add_co_ci_u32_e32 v17, vcc_lo, 0, v12, vcc_lo
	v_cmp_ne_u32_e32 vcc_lo, v13, v21
	v_cvt_f64_f32_e32 v[12:13], v16
	v_lshl_or_b32 v16, v19, 12, v7
	v_and_or_b32 v10, 0x1ff, v11, v10
	v_fma_f16 v0, v68, v18, -v0
	v_cndmask_b32_e64 v20, 0, 1, vcc_lo
	v_cmp_ne_u32_e32 vcc_lo, 0, v3
	v_lshrrev_b32_e32 v18, 16, v2
	v_cvt_f32_f16_e32 v0, v0
	v_or_b32_e32 v14, v14, v20
	v_cndmask_b32_e64 v3, 0, 1, vcc_lo
	v_cmp_gt_i32_e32 vcc_lo, 31, v1
	v_bfe_u32 v20, v11, 20, 11
	v_mul_f16_sdwa v22, v67, v18 dst_sel:DWORD dst_unused:UNUSED_PAD src0_sel:WORD_1 src1_sel:DWORD
	v_lshl_or_b32 v3, v3, 9, 0x7c00
	v_cndmask_b32_e32 v17, 0x7c00, v17, vcc_lo
	v_cmp_gt_i32_e32 vcc_lo, 1, v19
	v_fmac_f16_e32 v22, v67, v2
	v_mul_f16_sdwa v2, v67, v2 dst_sel:DWORD dst_unused:UNUSED_PAD src0_sel:WORD_1 src1_sel:DWORD
	v_cndmask_b32_e32 v14, v16, v14, vcc_lo
	v_cmp_ne_u32_e32 vcc_lo, 0, v10
	v_lshrrev_b32_e32 v16, 8, v11
	v_fma_f16 v2, v67, v18, -v2
	v_lshrrev_b32_e32 v11, 16, v11
	v_and_b32_e32 v21, 7, v14
	v_cndmask_b32_e64 v10, 0, 1, vcc_lo
	v_cmp_eq_u32_e32 vcc_lo, 0x40f, v1
	v_cvt_f32_f16_e32 v2, v2
	v_cmp_eq_u32_e64 s0, 3, v21
	v_and_or_b32 v16, 0xffe, v16, v10
	v_sub_nc_u32_e32 v10, 0x3f1, v20
	v_cndmask_b32_e32 v1, v17, v3, vcc_lo
	v_cmp_lt_i32_e32 vcc_lo, 5, v21
	v_lshrrev_b32_e32 v17, 16, v4
	v_mul_f64 v[3:4], v[12:13], s[4:5]
	v_lshrrev_b32_e32 v13, 2, v14
	v_or_b32_e32 v12, 0x1000, v16
	v_med3_i32 v10, v10, 0, 13
	s_or_b32 vcc_lo, s0, vcc_lo
	v_and_or_b32 v1, 0x8000, v17, v1
	v_add_co_ci_u32_e32 v13, vcc_lo, 0, v13, vcc_lo
	v_lshrrev_b32_e32 v14, v10, v12
	v_cmp_ne_u32_e32 vcc_lo, 0, v7
	v_lshl_or_b32 v17, v1, 16, v9
	v_lshlrev_b32_e32 v1, v10, v14
	v_cndmask_b32_e64 v7, 0, 1, vcc_lo
	v_cmp_gt_i32_e32 vcc_lo, 31, v19
	v_lshl_or_b32 v7, v7, 9, 0x7c00
	v_cndmask_b32_e32 v9, 0x7c00, v13, vcc_lo
	v_cmp_ne_u32_e32 vcc_lo, v1, v12
	v_and_or_b32 v3, 0x1ff, v4, v3
	v_add_nc_u32_e32 v12, 0xfffffc10, v20
	v_lshrrev_b32_e32 v13, 8, v4
	v_cndmask_b32_e64 v1, 0, 1, vcc_lo
	v_cmp_eq_u32_e32 vcc_lo, 0x40f, v19
	v_lshl_or_b32 v10, v12, 12, v16
	v_lshrrev_b32_e32 v19, 16, v8
	v_cndmask_b32_e32 v9, v9, v7, vcc_lo
	v_cmp_ne_u32_e32 vcc_lo, 0, v3
	v_or_b32_e32 v7, v14, v1
	v_bfe_u32 v14, v4, 20, 11
	v_cvt_f64_f32_e32 v[0:1], v0
	v_and_or_b32 v19, 0x8000, v19, v9
	v_cndmask_b32_e64 v3, 0, 1, vcc_lo
	v_cmp_gt_i32_e32 vcc_lo, 1, v12
	v_lshrrev_b32_e32 v4, 16, v4
	v_and_or_b32 v13, 0xffe, v13, v3
	v_sub_nc_u32_e32 v3, 0x3f1, v14
	v_cndmask_b32_e32 v10, v10, v7, vcc_lo
	v_add_co_u32 v7, vcc_lo, v5, s7
	v_or_b32_e32 v21, 0x1000, v13
	v_med3_i32 v3, v3, 0, 13
	v_and_b32_e32 v20, 7, v10
	v_add_co_ci_u32_e32 v8, vcc_lo, s6, v6, vcc_lo
	v_lshrrev_b32_e32 v9, 2, v10
	v_lshrrev_b32_e32 v23, v3, v21
	v_cmp_lt_i32_e32 vcc_lo, 5, v20
	v_cmp_eq_u32_e64 s0, 3, v20
	v_cvt_f32_f16_e32 v10, v22
	v_mul_f64 v[0:1], v[0:1], s[4:5]
	v_lshlrev_b32_e32 v3, v3, v23
	v_add_nc_u32_e32 v14, 0xfffffc10, v14
	s_or_b32 vcc_lo, s0, vcc_lo
	v_add_co_ci_u32_e32 v20, vcc_lo, 0, v9, vcc_lo
	v_cmp_ne_u32_e32 vcc_lo, v3, v21
	v_cvt_f64_f32_e32 v[9:10], v10
	v_lshl_or_b32 v21, v14, 12, v13
	v_cndmask_b32_e64 v3, 0, 1, vcc_lo
	v_cmp_ne_u32_e32 vcc_lo, 0, v16
	v_or_b32_e32 v3, v23, v3
	v_cndmask_b32_e64 v16, 0, 1, vcc_lo
	v_cmp_gt_i32_e32 vcc_lo, 31, v12
	v_and_or_b32 v0, 0x1ff, v1, v0
	v_lshl_or_b32 v16, v16, 9, 0x7c00
	v_cndmask_b32_e32 v18, 0x7c00, v20, vcc_lo
	v_cmp_gt_i32_e32 vcc_lo, 1, v14
	v_cndmask_b32_e32 v20, v21, v3, vcc_lo
	v_cmp_eq_u32_e32 vcc_lo, 0x40f, v12
	v_mul_f64 v[9:10], v[9:10], s[4:5]
	v_cvt_f64_f32_e32 v[2:3], v2
	v_bfe_u32 v21, v1, 20, 11
	v_cndmask_b32_e32 v12, v18, v16, vcc_lo
	v_cmp_ne_u32_e32 vcc_lo, 0, v0
	v_and_b32_e32 v16, 7, v20
	v_lshrrev_b32_e32 v18, 8, v1
	v_lshrrev_b32_e32 v1, 16, v1
	v_and_or_b32 v11, 0x8000, v11, v12
	v_and_b32_e32 v12, 0xffff, v19
	v_cndmask_b32_e64 v0, 0, 1, vcc_lo
	v_cmp_lt_i32_e32 vcc_lo, 5, v16
	v_cmp_eq_u32_e64 s0, 3, v16
	v_lshl_or_b32 v11, v11, 16, v12
	v_lshrrev_b32_e32 v12, 2, v20
	v_and_or_b32 v0, 0xffe, v18, v0
	v_sub_nc_u32_e32 v18, 0x3f1, v21
	s_or_b32 vcc_lo, s0, vcc_lo
	v_add_co_ci_u32_e32 v12, vcc_lo, 0, v12, vcc_lo
	v_or_b32_e32 v16, 0x1000, v0
	v_med3_i32 v18, v18, 0, 13
	v_cmp_ne_u32_e32 vcc_lo, 0, v13
	v_and_or_b32 v9, 0x1ff, v10, v9
	v_mul_f64 v[2:3], v[2:3], s[4:5]
	v_lshrrev_b32_e32 v20, 8, v10
	v_lshrrev_b32_e32 v19, v18, v16
	v_cndmask_b32_e64 v13, 0, 1, vcc_lo
	v_cmp_gt_i32_e32 vcc_lo, 31, v14
	v_bfe_u32 v22, v10, 20, 11
	v_lshrrev_b32_e32 v10, 16, v10
	v_lshlrev_b32_e32 v18, v18, v19
	v_lshl_or_b32 v13, v13, 9, 0x7c00
	v_cndmask_b32_e32 v12, 0x7c00, v12, vcc_lo
	v_cmp_ne_u32_e32 vcc_lo, 0, v9
	v_cndmask_b32_e64 v9, 0, 1, vcc_lo
	v_cmp_ne_u32_e32 vcc_lo, v18, v16
	v_add_nc_u32_e32 v18, 0xfffffc10, v21
	v_and_or_b32 v9, 0xffe, v20, v9
	v_cndmask_b32_e64 v16, 0, 1, vcc_lo
	v_sub_nc_u32_e32 v20, 0x3f1, v22
	v_cmp_eq_u32_e32 vcc_lo, 0x40f, v14
	v_lshl_or_b32 v14, v18, 12, v0
	v_and_or_b32 v2, 0x1ff, v3, v2
	v_bfe_u32 v21, v3, 20, 11
	v_cndmask_b32_e32 v12, v12, v13, vcc_lo
	v_or_b32_e32 v13, v19, v16
	v_or_b32_e32 v16, 0x1000, v9
	v_med3_i32 v19, v20, 0, 13
	v_cmp_gt_i32_e32 vcc_lo, 1, v18
	v_lshrrev_b32_e32 v20, 8, v3
	v_and_or_b32 v4, 0x8000, v4, v12
	v_sub_nc_u32_e32 v12, 0x3f1, v21
	v_lshrrev_b32_e32 v3, 16, v3
	v_cndmask_b32_e32 v13, v14, v13, vcc_lo
	v_lshrrev_b32_e32 v14, v19, v16
	v_cmp_ne_u32_e32 vcc_lo, 0, v2
	v_med3_i32 v12, v12, 0, 13
	v_and_b32_e32 v4, 0xffff, v4
	v_and_b32_e32 v23, 7, v13
	v_lshlrev_b32_e32 v19, v19, v14
	v_cndmask_b32_e64 v2, 0, 1, vcc_lo
	v_lshrrev_b32_e32 v13, 2, v13
	v_cmp_lt_i32_e32 vcc_lo, 5, v23
	v_cmp_ne_u32_e64 s0, v19, v16
	v_and_or_b32 v2, 0xffe, v20, v2
	v_add_nc_u32_e32 v20, 0xfffffc10, v22
	v_cndmask_b32_e64 v16, 0, 1, s0
	v_cmp_eq_u32_e64 s0, 3, v23
	v_or_b32_e32 v19, 0x1000, v2
	v_lshl_or_b32 v22, v20, 12, v9
	v_or_b32_e32 v14, v14, v16
	s_or_b32 vcc_lo, s0, vcc_lo
	v_lshrrev_b32_e32 v16, v12, v19
	v_add_co_ci_u32_e32 v13, vcc_lo, 0, v13, vcc_lo
	v_cmp_gt_i32_e32 vcc_lo, 1, v20
	v_lshlrev_b32_e32 v12, v12, v16
	v_cndmask_b32_e32 v14, v22, v14, vcc_lo
	v_cmp_ne_u32_e32 vcc_lo, 0, v0
	v_cndmask_b32_e64 v0, 0, 1, vcc_lo
	v_cmp_ne_u32_e32 vcc_lo, v12, v19
	v_add_nc_u32_e32 v19, 0xfffffc10, v21
	v_and_b32_e32 v21, 7, v14
	v_lshl_or_b32 v0, v0, 9, 0x7c00
	v_cndmask_b32_e64 v12, 0, 1, vcc_lo
	v_cmp_gt_i32_e32 vcc_lo, 31, v18
	v_cmp_gt_i32_e64 s1, 1, v19
	v_cmp_eq_u32_e64 s0, 3, v21
	v_or_b32_e32 v12, v16, v12
	v_lshl_or_b32 v16, v19, 12, v2
	v_cndmask_b32_e32 v13, 0x7c00, v13, vcc_lo
	v_cmp_lt_i32_e32 vcc_lo, 5, v21
	v_cndmask_b32_e64 v12, v16, v12, s1
	v_cmp_eq_u32_e64 s1, 0x40f, v18
	s_or_b32 vcc_lo, s0, vcc_lo
	v_cndmask_b32_e64 v0, v13, v0, s1
	v_lshrrev_b32_e32 v13, 2, v14
	v_and_b32_e32 v14, 7, v12
	v_lshrrev_b32_e32 v12, 2, v12
	v_cmp_gt_i32_e64 s1, 31, v20
	v_add_co_ci_u32_e32 v13, vcc_lo, 0, v13, vcc_lo
	v_cmp_ne_u32_e32 vcc_lo, 0, v9
	v_cmp_eq_u32_e64 s0, 3, v14
	v_cndmask_b32_e64 v13, 0x7c00, v13, s1
	v_cndmask_b32_e64 v9, 0, 1, vcc_lo
	v_cmp_lt_i32_e32 vcc_lo, 5, v14
	v_lshl_or_b32 v9, v9, 9, 0x7c00
	s_or_b32 vcc_lo, s0, vcc_lo
	v_add_co_ci_u32_e32 v12, vcc_lo, 0, v12, vcc_lo
	v_cmp_ne_u32_e32 vcc_lo, 0, v2
	v_cndmask_b32_e64 v2, 0, 1, vcc_lo
	v_cmp_eq_u32_e32 vcc_lo, 0x40f, v20
	v_lshl_or_b32 v2, v2, 9, 0x7c00
	v_cndmask_b32_e32 v9, v13, v9, vcc_lo
	v_cmp_gt_i32_e32 vcc_lo, 31, v19
	v_and_or_b32 v13, 0x8000, v1, v0
	v_and_or_b32 v9, 0x8000, v10, v9
	v_cndmask_b32_e32 v12, 0x7c00, v12, vcc_lo
	v_cmp_eq_u32_e32 vcc_lo, 0x40f, v19
	v_lshl_or_b32 v4, v13, 16, v4
	v_and_b32_e32 v9, 0xffff, v9
	v_cndmask_b32_e32 v2, v12, v2, vcc_lo
	v_add_co_u32 v0, vcc_lo, v7, s3
	v_add_co_ci_u32_e32 v1, vcc_lo, s2, v8, vcc_lo
	v_and_or_b32 v10, 0x8000, v3, v2
	v_add_co_u32 v2, vcc_lo, v0, s7
	v_add_co_ci_u32_e32 v3, vcc_lo, s6, v1, vcc_lo
	v_lshl_or_b32 v12, v10, 16, v9
	v_add_co_u32 v9, vcc_lo, v2, s3
	v_add_co_ci_u32_e32 v10, vcc_lo, s2, v3, vcc_lo
	global_store_dword v[5:6], v15, off
	global_store_dword v[7:8], v17, off
	;; [unrolled: 1-line block ×5, first 2 shown]
.LBB0_10:
	s_endpgm
	.section	.rodata,"a",@progbits
	.p2align	6, 0x0
	.amdhsa_kernel bluestein_single_fwd_len1078_dim1_half_op_CI_CI
		.amdhsa_group_segment_fixed_size 12936
		.amdhsa_private_segment_fixed_size 0
		.amdhsa_kernarg_size 104
		.amdhsa_user_sgpr_count 6
		.amdhsa_user_sgpr_private_segment_buffer 1
		.amdhsa_user_sgpr_dispatch_ptr 0
		.amdhsa_user_sgpr_queue_ptr 0
		.amdhsa_user_sgpr_kernarg_segment_ptr 1
		.amdhsa_user_sgpr_dispatch_id 0
		.amdhsa_user_sgpr_flat_scratch_init 0
		.amdhsa_user_sgpr_private_segment_size 0
		.amdhsa_wavefront_size32 1
		.amdhsa_uses_dynamic_stack 0
		.amdhsa_system_sgpr_private_segment_wavefront_offset 0
		.amdhsa_system_sgpr_workgroup_id_x 1
		.amdhsa_system_sgpr_workgroup_id_y 0
		.amdhsa_system_sgpr_workgroup_id_z 0
		.amdhsa_system_sgpr_workgroup_info 0
		.amdhsa_system_vgpr_workitem_id 0
		.amdhsa_next_free_vgpr 205
		.amdhsa_next_free_sgpr 20
		.amdhsa_reserve_vcc 1
		.amdhsa_reserve_flat_scratch 0
		.amdhsa_float_round_mode_32 0
		.amdhsa_float_round_mode_16_64 0
		.amdhsa_float_denorm_mode_32 3
		.amdhsa_float_denorm_mode_16_64 3
		.amdhsa_dx10_clamp 1
		.amdhsa_ieee_mode 1
		.amdhsa_fp16_overflow 0
		.amdhsa_workgroup_processor_mode 1
		.amdhsa_memory_ordered 1
		.amdhsa_forward_progress 0
		.amdhsa_shared_vgpr_count 0
		.amdhsa_exception_fp_ieee_invalid_op 0
		.amdhsa_exception_fp_denorm_src 0
		.amdhsa_exception_fp_ieee_div_zero 0
		.amdhsa_exception_fp_ieee_overflow 0
		.amdhsa_exception_fp_ieee_underflow 0
		.amdhsa_exception_fp_ieee_inexact 0
		.amdhsa_exception_int_div_zero 0
	.end_amdhsa_kernel
	.text
.Lfunc_end0:
	.size	bluestein_single_fwd_len1078_dim1_half_op_CI_CI, .Lfunc_end0-bluestein_single_fwd_len1078_dim1_half_op_CI_CI
                                        ; -- End function
	.section	.AMDGPU.csdata,"",@progbits
; Kernel info:
; codeLenInByte = 27820
; NumSgprs: 22
; NumVgprs: 205
; ScratchSize: 0
; MemoryBound: 0
; FloatMode: 240
; IeeeMode: 1
; LDSByteSize: 12936 bytes/workgroup (compile time only)
; SGPRBlocks: 2
; VGPRBlocks: 25
; NumSGPRsForWavesPerEU: 22
; NumVGPRsForWavesPerEU: 205
; Occupancy: 4
; WaveLimiterHint : 1
; COMPUTE_PGM_RSRC2:SCRATCH_EN: 0
; COMPUTE_PGM_RSRC2:USER_SGPR: 6
; COMPUTE_PGM_RSRC2:TRAP_HANDLER: 0
; COMPUTE_PGM_RSRC2:TGID_X_EN: 1
; COMPUTE_PGM_RSRC2:TGID_Y_EN: 0
; COMPUTE_PGM_RSRC2:TGID_Z_EN: 0
; COMPUTE_PGM_RSRC2:TIDIG_COMP_CNT: 0
	.text
	.p2alignl 6, 3214868480
	.fill 48, 4, 3214868480
	.type	__hip_cuid_52b773c92c579b91,@object ; @__hip_cuid_52b773c92c579b91
	.section	.bss,"aw",@nobits
	.globl	__hip_cuid_52b773c92c579b91
__hip_cuid_52b773c92c579b91:
	.byte	0                               ; 0x0
	.size	__hip_cuid_52b773c92c579b91, 1

	.ident	"AMD clang version 19.0.0git (https://github.com/RadeonOpenCompute/llvm-project roc-6.4.0 25133 c7fe45cf4b819c5991fe208aaa96edf142730f1d)"
	.section	".note.GNU-stack","",@progbits
	.addrsig
	.addrsig_sym __hip_cuid_52b773c92c579b91
	.amdgpu_metadata
---
amdhsa.kernels:
  - .args:
      - .actual_access:  read_only
        .address_space:  global
        .offset:         0
        .size:           8
        .value_kind:     global_buffer
      - .actual_access:  read_only
        .address_space:  global
        .offset:         8
        .size:           8
        .value_kind:     global_buffer
      - .actual_access:  read_only
        .address_space:  global
        .offset:         16
        .size:           8
        .value_kind:     global_buffer
      - .actual_access:  read_only
        .address_space:  global
        .offset:         24
        .size:           8
        .value_kind:     global_buffer
      - .actual_access:  read_only
        .address_space:  global
        .offset:         32
        .size:           8
        .value_kind:     global_buffer
      - .offset:         40
        .size:           8
        .value_kind:     by_value
      - .address_space:  global
        .offset:         48
        .size:           8
        .value_kind:     global_buffer
      - .address_space:  global
        .offset:         56
        .size:           8
        .value_kind:     global_buffer
      - .address_space:  global
        .offset:         64
        .size:           8
        .value_kind:     global_buffer
      - .address_space:  global
        .offset:         72
        .size:           8
        .value_kind:     global_buffer
      - .offset:         80
        .size:           4
        .value_kind:     by_value
      - .address_space:  global
        .offset:         88
        .size:           8
        .value_kind:     global_buffer
      - .address_space:  global
        .offset:         96
        .size:           8
        .value_kind:     global_buffer
    .group_segment_fixed_size: 12936
    .kernarg_segment_align: 8
    .kernarg_segment_size: 104
    .language:       OpenCL C
    .language_version:
      - 2
      - 0
    .max_flat_workgroup_size: 231
    .name:           bluestein_single_fwd_len1078_dim1_half_op_CI_CI
    .private_segment_fixed_size: 0
    .sgpr_count:     22
    .sgpr_spill_count: 0
    .symbol:         bluestein_single_fwd_len1078_dim1_half_op_CI_CI.kd
    .uniform_work_group_size: 1
    .uses_dynamic_stack: false
    .vgpr_count:     205
    .vgpr_spill_count: 0
    .wavefront_size: 32
    .workgroup_processor_mode: 1
amdhsa.target:   amdgcn-amd-amdhsa--gfx1030
amdhsa.version:
  - 1
  - 2
...

	.end_amdgpu_metadata
